;; amdgpu-corpus repo=ROCm/rocFFT kind=compiled arch=gfx906 opt=O3
	.text
	.amdgcn_target "amdgcn-amd-amdhsa--gfx906"
	.amdhsa_code_object_version 6
	.protected	fft_rtc_back_len169_factors_13_13_wgs_156_tpt_13_half_op_CI_CI_sbcc_twdbase8_3step_dirReg ; -- Begin function fft_rtc_back_len169_factors_13_13_wgs_156_tpt_13_half_op_CI_CI_sbcc_twdbase8_3step_dirReg
	.globl	fft_rtc_back_len169_factors_13_13_wgs_156_tpt_13_half_op_CI_CI_sbcc_twdbase8_3step_dirReg
	.p2align	8
	.type	fft_rtc_back_len169_factors_13_13_wgs_156_tpt_13_half_op_CI_CI_sbcc_twdbase8_3step_dirReg,@function
fft_rtc_back_len169_factors_13_13_wgs_156_tpt_13_half_op_CI_CI_sbcc_twdbase8_3step_dirReg: ; @fft_rtc_back_len169_factors_13_13_wgs_156_tpt_13_half_op_CI_CI_sbcc_twdbase8_3step_dirReg
; %bb.0:
	s_load_dwordx4 s[0:3], s[4:5], 0x18
	s_load_dwordx2 s[30:31], s[4:5], 0x28
	s_mov_b32 s7, 0
	s_mov_b64 s[24:25], 0
	s_waitcnt lgkmcnt(0)
	s_load_dwordx2 s[28:29], s[0:1], 0x8
	s_waitcnt lgkmcnt(0)
	s_add_u32 s8, s28, -1
	s_addc_u32 s9, s29, -1
	s_add_u32 s10, 0, 0x55540000
	s_addc_u32 s11, 0, 0x55
	s_mul_hi_u32 s13, s10, -12
	s_add_i32 s11, s11, 0x15555500
	s_sub_i32 s13, s13, s10
	s_mul_i32 s16, s11, -12
	s_mul_i32 s12, s10, -12
	s_add_i32 s13, s13, s16
	s_mul_hi_u32 s14, s11, s12
	s_mul_i32 s15, s11, s12
	s_mul_i32 s17, s10, s13
	s_mul_hi_u32 s12, s10, s12
	s_mul_hi_u32 s16, s10, s13
	s_add_u32 s12, s12, s17
	s_addc_u32 s16, 0, s16
	s_add_u32 s12, s12, s15
	s_mul_hi_u32 s17, s11, s13
	s_addc_u32 s12, s16, s14
	s_addc_u32 s14, s17, 0
	s_mul_i32 s13, s11, s13
	s_add_u32 s12, s12, s13
	v_mov_b32_e32 v1, s12
	s_addc_u32 s13, 0, s14
	v_add_co_u32_e32 v1, vcc, s10, v1
	s_cmp_lg_u64 vcc, 0
	s_addc_u32 s10, s11, s13
	v_readfirstlane_b32 s13, v1
	s_mul_i32 s12, s8, s10
	s_mul_hi_u32 s14, s8, s13
	s_mul_hi_u32 s11, s8, s10
	s_add_u32 s12, s14, s12
	s_addc_u32 s11, 0, s11
	s_mul_hi_u32 s15, s9, s13
	s_mul_i32 s13, s9, s13
	s_add_u32 s12, s12, s13
	s_mul_hi_u32 s14, s9, s10
	s_addc_u32 s11, s11, s15
	s_addc_u32 s12, s14, 0
	s_mul_i32 s10, s9, s10
	s_add_u32 s10, s11, s10
	s_addc_u32 s11, 0, s12
	s_add_u32 s12, s10, 1
	s_addc_u32 s13, s11, 0
	s_add_u32 s14, s10, 2
	s_mul_i32 s16, s11, 12
	s_mul_hi_u32 s17, s10, 12
	s_addc_u32 s15, s11, 0
	s_add_i32 s17, s17, s16
	s_mul_i32 s16, s10, 12
	v_mov_b32_e32 v1, s16
	v_sub_co_u32_e32 v1, vcc, s8, v1
	s_cmp_lg_u64 vcc, 0
	s_subb_u32 s8, s9, s17
	v_subrev_co_u32_e32 v2, vcc, 12, v1
	s_cmp_lg_u64 vcc, 0
	s_subb_u32 s9, s8, 0
	v_readfirstlane_b32 s16, v2
	s_cmp_gt_u32 s16, 11
	s_cselect_b32 s16, -1, 0
	s_cmp_eq_u32 s9, 0
	s_cselect_b32 s9, s16, -1
	s_cmp_lg_u32 s9, 0
	s_cselect_b32 s9, s14, s12
	s_cselect_b32 s12, s15, s13
	v_readfirstlane_b32 s13, v1
	s_cmp_gt_u32 s13, 11
	s_cselect_b32 s13, -1, 0
	s_cmp_eq_u32 s8, 0
	s_cselect_b32 s8, s13, -1
	s_cmp_lg_u32 s8, 0
	s_cselect_b32 s9, s9, s10
	s_cselect_b32 s8, s12, s11
	s_add_u32 s36, s9, 1
	s_addc_u32 s37, s8, 0
	v_mov_b32_e32 v1, s36
	v_mov_b32_e32 v2, s37
	v_cmp_lt_u64_e32 vcc, s[6:7], v[1:2]
	s_cbranch_vccnz .LBB0_2
; %bb.1:
	v_cvt_f32_u32_e32 v1, s36
	s_sub_i32 s8, 0, s36
	s_mov_b32 s25, s7
	v_rcp_iflag_f32_e32 v1, v1
	v_mul_f32_e32 v1, 0x4f7ffffe, v1
	v_cvt_u32_f32_e32 v1, v1
	v_readfirstlane_b32 s9, v1
	s_mul_i32 s8, s8, s9
	s_mul_hi_u32 s8, s9, s8
	s_add_i32 s9, s9, s8
	s_mul_hi_u32 s8, s6, s9
	s_mul_i32 s10, s8, s36
	s_sub_i32 s10, s6, s10
	s_add_i32 s9, s8, 1
	s_sub_i32 s11, s10, s36
	s_cmp_ge_u32 s10, s36
	s_cselect_b32 s8, s9, s8
	s_cselect_b32 s10, s11, s10
	s_add_i32 s9, s8, 1
	s_cmp_ge_u32 s10, s36
	s_cselect_b32 s24, s9, s8
.LBB0_2:
	s_load_dwordx4 s[12:15], s[4:5], 0x60
	s_load_dwordx4 s[20:23], s[2:3], 0x0
	;; [unrolled: 1-line block ×3, first 2 shown]
	s_load_dwordx2 s[26:27], s[4:5], 0x0
	s_load_dwordx4 s[16:19], s[4:5], 0x8
	s_mul_i32 s4, s24, s37
	s_mul_hi_u32 s5, s24, s36
	s_add_i32 s5, s5, s4
	s_mul_i32 s4, s24, s36
	s_sub_u32 s52, s6, s4
	s_subb_u32 s4, 0, s5
	s_mul_i32 s4, s4, 12
	s_mul_hi_u32 s33, s52, 12
	s_add_i32 s33, s33, s4
	s_mul_i32 s52, s52, 12
	s_waitcnt lgkmcnt(0)
	s_mul_i32 s4, s22, s33
	s_mul_hi_u32 s5, s22, s52
	s_add_i32 s4, s5, s4
	s_mul_i32 s5, s23, s52
	s_add_i32 s35, s4, s5
	s_mul_i32 s4, s10, s33
	s_mul_hi_u32 s5, s10, s52
	v_cmp_lt_u64_e64 s[38:39], s[18:19], 3
	s_add_i32 s4, s5, s4
	s_mul_i32 s5, s11, s52
	s_mul_i32 s34, s22, s52
	s_add_i32 s5, s4, s5
	s_mul_i32 s4, s10, s52
	s_and_b64 vcc, exec, s[38:39]
	s_cbranch_vccnz .LBB0_12
; %bb.3:
	s_add_u32 s38, s30, 16
	s_addc_u32 s39, s31, 0
	s_add_u32 s40, s2, 16
	s_addc_u32 s41, s3, 0
	s_add_u32 s42, s0, 16
	v_mov_b32_e32 v1, s18
	s_addc_u32 s43, s1, 0
	s_mov_b64 s[44:45], 2
	s_mov_b32 s46, 0
	v_mov_b32_e32 v2, s19
.LBB0_4:                                ; =>This Inner Loop Header: Depth=1
	s_load_dwordx2 s[48:49], s[42:43], 0x0
	s_waitcnt lgkmcnt(0)
	s_or_b64 s[0:1], s[24:25], s[48:49]
	s_mov_b32 s47, s1
	s_cmp_lg_u64 s[46:47], 0
	s_cbranch_scc0 .LBB0_9
; %bb.5:                                ;   in Loop: Header=BB0_4 Depth=1
	v_cvt_f32_u32_e32 v3, s48
	v_cvt_f32_u32_e32 v4, s49
	s_sub_u32 s0, 0, s48
	s_subb_u32 s1, 0, s49
	v_mac_f32_e32 v3, 0x4f800000, v4
	v_rcp_f32_e32 v3, v3
	v_mul_f32_e32 v3, 0x5f7ffffc, v3
	v_mul_f32_e32 v4, 0x2f800000, v3
	v_trunc_f32_e32 v4, v4
	v_mac_f32_e32 v3, 0xcf800000, v4
	v_cvt_u32_f32_e32 v4, v4
	v_cvt_u32_f32_e32 v3, v3
	v_readfirstlane_b32 s47, v4
	v_readfirstlane_b32 s50, v3
	s_mul_i32 s51, s0, s47
	s_mul_hi_u32 s54, s0, s50
	s_mul_i32 s53, s1, s50
	s_add_i32 s51, s54, s51
	s_mul_i32 s55, s0, s50
	s_add_i32 s51, s51, s53
	s_mul_hi_u32 s53, s50, s51
	s_mul_i32 s54, s50, s51
	s_mul_hi_u32 s50, s50, s55
	s_add_u32 s50, s50, s54
	s_addc_u32 s53, 0, s53
	s_mul_hi_u32 s56, s47, s55
	s_mul_i32 s55, s47, s55
	s_add_u32 s50, s50, s55
	s_mul_hi_u32 s54, s47, s51
	s_addc_u32 s50, s53, s56
	s_addc_u32 s53, s54, 0
	s_mul_i32 s51, s47, s51
	s_add_u32 s50, s50, s51
	s_addc_u32 s51, 0, s53
	v_add_co_u32_e32 v3, vcc, s50, v3
	s_cmp_lg_u64 vcc, 0
	s_addc_u32 s47, s47, s51
	v_readfirstlane_b32 s51, v3
	s_mul_i32 s50, s0, s47
	s_mul_hi_u32 s53, s0, s51
	s_add_i32 s50, s53, s50
	s_mul_i32 s1, s1, s51
	s_add_i32 s50, s50, s1
	s_mul_i32 s0, s0, s51
	s_mul_hi_u32 s53, s47, s0
	s_mul_i32 s54, s47, s0
	s_mul_i32 s56, s51, s50
	s_mul_hi_u32 s0, s51, s0
	s_mul_hi_u32 s55, s51, s50
	s_add_u32 s0, s0, s56
	s_addc_u32 s51, 0, s55
	s_add_u32 s0, s0, s54
	s_mul_hi_u32 s1, s47, s50
	s_addc_u32 s0, s51, s53
	s_addc_u32 s1, s1, 0
	s_mul_i32 s50, s47, s50
	s_add_u32 s0, s0, s50
	s_addc_u32 s1, 0, s1
	v_add_co_u32_e32 v3, vcc, s0, v3
	s_cmp_lg_u64 vcc, 0
	s_addc_u32 s0, s47, s1
	v_readfirstlane_b32 s50, v3
	s_mul_i32 s47, s24, s0
	s_mul_hi_u32 s51, s24, s50
	s_mul_hi_u32 s1, s24, s0
	s_add_u32 s47, s51, s47
	s_addc_u32 s1, 0, s1
	s_mul_hi_u32 s53, s25, s50
	s_mul_i32 s50, s25, s50
	s_add_u32 s47, s47, s50
	s_mul_hi_u32 s51, s25, s0
	s_addc_u32 s1, s1, s53
	s_addc_u32 s47, s51, 0
	s_mul_i32 s0, s25, s0
	s_add_u32 s50, s1, s0
	s_addc_u32 s47, 0, s47
	s_mul_i32 s0, s48, s47
	s_mul_hi_u32 s1, s48, s50
	s_add_i32 s0, s1, s0
	s_mul_i32 s1, s49, s50
	s_add_i32 s51, s0, s1
	s_mul_i32 s1, s48, s50
	v_mov_b32_e32 v3, s1
	s_sub_i32 s0, s25, s51
	v_sub_co_u32_e32 v3, vcc, s24, v3
	s_cmp_lg_u64 vcc, 0
	s_subb_u32 s53, s0, s49
	v_subrev_co_u32_e64 v4, s[0:1], s48, v3
	s_cmp_lg_u64 s[0:1], 0
	s_subb_u32 s0, s53, 0
	s_cmp_ge_u32 s0, s49
	v_readfirstlane_b32 s53, v4
	s_cselect_b32 s1, -1, 0
	s_cmp_ge_u32 s53, s48
	s_cselect_b32 s53, -1, 0
	s_cmp_eq_u32 s0, s49
	s_cselect_b32 s0, s53, s1
	s_add_u32 s1, s50, 1
	s_addc_u32 s53, s47, 0
	s_add_u32 s54, s50, 2
	s_addc_u32 s55, s47, 0
	s_cmp_lg_u32 s0, 0
	s_cselect_b32 s0, s54, s1
	s_cselect_b32 s1, s55, s53
	s_cmp_lg_u64 vcc, 0
	s_subb_u32 s51, s25, s51
	s_cmp_ge_u32 s51, s49
	v_readfirstlane_b32 s54, v3
	s_cselect_b32 s53, -1, 0
	s_cmp_ge_u32 s54, s48
	s_cselect_b32 s54, -1, 0
	s_cmp_eq_u32 s51, s49
	s_cselect_b32 s51, s54, s53
	s_cmp_lg_u32 s51, 0
	s_cselect_b32 s1, s1, s47
	s_cselect_b32 s0, s0, s50
	s_cbranch_execnz .LBB0_7
.LBB0_6:                                ;   in Loop: Header=BB0_4 Depth=1
	v_cvt_f32_u32_e32 v3, s48
	s_sub_i32 s0, 0, s48
	v_rcp_iflag_f32_e32 v3, v3
	v_mul_f32_e32 v3, 0x4f7ffffe, v3
	v_cvt_u32_f32_e32 v3, v3
	v_readfirstlane_b32 s1, v3
	s_mul_i32 s0, s0, s1
	s_mul_hi_u32 s0, s1, s0
	s_add_i32 s1, s1, s0
	s_mul_hi_u32 s0, s24, s1
	s_mul_i32 s47, s0, s48
	s_sub_i32 s47, s24, s47
	s_add_i32 s1, s0, 1
	s_sub_i32 s50, s47, s48
	s_cmp_ge_u32 s47, s48
	s_cselect_b32 s0, s1, s0
	s_cselect_b32 s47, s50, s47
	s_add_i32 s1, s0, 1
	s_cmp_ge_u32 s47, s48
	s_cselect_b32 s0, s1, s0
	s_mov_b32 s1, s46
.LBB0_7:                                ;   in Loop: Header=BB0_4 Depth=1
	s_mul_i32 s37, s48, s37
	s_mul_hi_u32 s47, s48, s36
	s_add_i32 s37, s47, s37
	s_mul_i32 s47, s49, s36
	s_add_i32 s37, s37, s47
	s_mul_i32 s47, s0, s49
	s_mul_hi_u32 s49, s0, s48
	s_load_dwordx2 s[50:51], s[40:41], 0x0
	s_add_i32 s47, s49, s47
	s_mul_i32 s49, s1, s48
	s_mul_i32 s36, s48, s36
	s_add_i32 s47, s47, s49
	s_mul_i32 s48, s0, s48
	s_sub_u32 s48, s24, s48
	s_subb_u32 s47, s25, s47
	s_waitcnt lgkmcnt(0)
	s_mul_i32 s24, s50, s47
	s_mul_hi_u32 s25, s50, s48
	s_add_i32 s49, s25, s24
	s_load_dwordx2 s[24:25], s[38:39], 0x0
	s_mul_i32 s51, s51, s48
	s_add_i32 s49, s49, s51
	s_mul_i32 s50, s50, s48
	s_add_u32 s34, s50, s34
	s_addc_u32 s35, s49, s35
	s_waitcnt lgkmcnt(0)
	s_mul_i32 s47, s24, s47
	s_mul_hi_u32 s49, s24, s48
	s_add_i32 s47, s49, s47
	s_mul_i32 s25, s25, s48
	s_add_i32 s47, s47, s25
	s_mul_i32 s24, s24, s48
	s_add_u32 s4, s24, s4
	s_addc_u32 s5, s47, s5
	s_add_u32 s44, s44, 1
	s_addc_u32 s45, s45, 0
	;; [unrolled: 2-line block ×4, first 2 shown]
	v_cmp_ge_u64_e32 vcc, s[44:45], v[1:2]
	s_add_u32 s42, s42, 8
	s_addc_u32 s43, s43, 0
	s_cbranch_vccnz .LBB0_10
; %bb.8:                                ;   in Loop: Header=BB0_4 Depth=1
	s_mov_b64 s[24:25], s[0:1]
	s_branch .LBB0_4
.LBB0_9:                                ;   in Loop: Header=BB0_4 Depth=1
                                        ; implicit-def: $sgpr0_sgpr1
	s_branch .LBB0_6
.LBB0_10:
	v_mov_b32_e32 v1, s36
	v_mov_b32_e32 v2, s37
	v_cmp_lt_u64_e32 vcc, s[6:7], v[1:2]
	s_mov_b64 s[24:25], 0
	s_cbranch_vccnz .LBB0_12
; %bb.11:
	v_cvt_f32_u32_e32 v1, s36
	s_sub_i32 s0, 0, s36
	v_rcp_iflag_f32_e32 v1, v1
	v_mul_f32_e32 v1, 0x4f7ffffe, v1
	v_cvt_u32_f32_e32 v1, v1
	v_readfirstlane_b32 s1, v1
	s_mul_i32 s0, s0, s1
	s_mul_hi_u32 s0, s1, s0
	s_add_i32 s1, s1, s0
	s_mul_hi_u32 s0, s6, s1
	s_mul_i32 s7, s0, s36
	s_sub_i32 s6, s6, s7
	s_add_i32 s1, s0, 1
	s_sub_i32 s7, s6, s36
	s_cmp_ge_u32 s6, s36
	s_cselect_b32 s0, s1, s0
	s_cselect_b32 s6, s7, s6
	s_add_i32 s1, s0, 1
	s_cmp_ge_u32 s6, s36
	s_cselect_b32 s24, s1, s0
.LBB0_12:
	v_mul_u32_u24_e32 v1, 0x1556, v0
	s_lshl_b64 s[36:37], s[18:19], 3
	v_lshrrev_b32_e32 v3, 16, v1
	s_add_u32 s18, s30, s36
	v_mul_lo_u16_e32 v1, 12, v3
	s_addc_u32 s19, s31, s37
	v_sub_u16_e32 v4, v0, v1
	v_mov_b32_e32 v2, s33
	v_add_co_u32_e32 v1, vcc, s52, v4
	s_add_u32 s0, s52, 12
	v_mov_b32_e32 v5, s28
	v_addc_co_u32_e32 v2, vcc, 0, v2, vcc
	s_addc_u32 s1, s33, 0
	v_mov_b32_e32 v6, s29
	v_cmp_le_u64_e32 vcc, s[0:1], v[5:6]
	v_cmp_gt_u64_e64 s[0:1], s[28:29], v[1:2]
                                        ; implicit-def: $vgpr23
                                        ; implicit-def: $vgpr18
                                        ; implicit-def: $vgpr27
                                        ; implicit-def: $vgpr25
                                        ; implicit-def: $vgpr24
                                        ; implicit-def: $vgpr17
                                        ; implicit-def: $vgpr20
                                        ; implicit-def: $vgpr13
                                        ; implicit-def: $vgpr15
                                        ; implicit-def: $vgpr9
                                        ; implicit-def: $vgpr11
                                        ; implicit-def: $vgpr6
                                        ; implicit-def: $vgpr7
                                        ; implicit-def: $vgpr2
                                        ; implicit-def: $vgpr29
                                        ; implicit-def: $vgpr28
                                        ; implicit-def: $vgpr26
                                        ; implicit-def: $vgpr22
                                        ; implicit-def: $vgpr21
                                        ; implicit-def: $vgpr19
                                        ; implicit-def: $vgpr16
                                        ; implicit-def: $vgpr14
                                        ; implicit-def: $vgpr12
                                        ; implicit-def: $vgpr10
                                        ; implicit-def: $vgpr8
                                        ; implicit-def: $vgpr5
	s_or_b64 s[6:7], vcc, s[0:1]
	s_and_saveexec_b64 s[0:1], s[6:7]
	s_cbranch_execz .LBB0_14
; %bb.13:
	s_add_u32 s2, s2, s36
	s_addc_u32 s3, s3, s37
	s_load_dwordx2 s[2:3], s[2:3], 0x0
	v_mad_u64_u32 v[5:6], s[28:29], s22, v4, 0
	v_mad_u64_u32 v[7:8], s[28:29], s20, v3, 0
	s_waitcnt lgkmcnt(0)
	s_mul_i32 s3, s3, s24
	s_mul_hi_u32 s25, s2, s24
	v_mov_b32_e32 v2, v6
	s_add_i32 s3, s25, s3
	s_mul_i32 s2, s2, s24
	v_mad_u64_u32 v[9:10], s[22:23], s23, v4, v[2:3]
	v_mov_b32_e32 v2, v8
	s_lshl_b64 s[2:3], s[2:3], 2
	v_mad_u64_u32 v[10:11], s[22:23], s21, v3, v[2:3]
	s_add_u32 s12, s12, s2
	s_addc_u32 s13, s13, s3
	s_lshl_b64 s[2:3], s[34:35], 2
	s_add_u32 s12, s12, s2
	s_addc_u32 s2, s13, s3
	v_add_u32_e32 v11, 13, v3
	v_mov_b32_e32 v6, v9
	v_mov_b32_e32 v8, v10
	;; [unrolled: 1-line block ×3, first 2 shown]
	v_mad_u64_u32 v[9:10], s[2:3], s20, v11, 0
	v_lshlrev_b64 v[5:6], 2, v[5:6]
	v_add_u32_e32 v16, 0x82, v3
	v_add_co_u32_e32 v34, vcc, s12, v5
	v_addc_co_u32_e32 v35, vcc, v2, v6, vcc
	v_mov_b32_e32 v2, v10
	v_lshlrev_b64 v[5:6], 2, v[7:8]
	v_mad_u64_u32 v[7:8], s[2:3], s21, v11, v[2:3]
	v_add_u32_e32 v8, 26, v3
	v_mad_u64_u32 v[11:12], s[2:3], s20, v8, 0
	v_add_co_u32_e32 v14, vcc, v34, v5
	v_mov_b32_e32 v10, v7
	v_mov_b32_e32 v2, v12
	v_addc_co_u32_e32 v15, vcc, v35, v6, vcc
	v_lshlrev_b64 v[5:6], 2, v[9:10]
	v_mad_u64_u32 v[7:8], s[2:3], s21, v8, v[2:3]
	v_add_u32_e32 v10, 39, v3
	v_mad_u64_u32 v[8:9], s[2:3], s20, v10, 0
	v_add_co_u32_e32 v19, vcc, v34, v5
	v_mov_b32_e32 v2, v9
	v_mov_b32_e32 v12, v7
	v_mad_u64_u32 v[9:10], s[2:3], s21, v10, v[2:3]
	v_add_u32_e32 v7, 52, v3
	v_addc_co_u32_e32 v20, vcc, v35, v6, vcc
	v_lshlrev_b64 v[5:6], 2, v[11:12]
	v_mad_u64_u32 v[10:11], s[2:3], s20, v7, 0
	v_add_co_u32_e32 v21, vcc, v34, v5
	v_mov_b32_e32 v2, v11
	v_addc_co_u32_e32 v22, vcc, v35, v6, vcc
	v_lshlrev_b64 v[5:6], 2, v[8:9]
	v_mad_u64_u32 v[7:8], s[2:3], s21, v7, v[2:3]
	v_add_u32_e32 v12, 0x41, v3
	v_mad_u64_u32 v[8:9], s[2:3], s20, v12, 0
	v_add_co_u32_e32 v23, vcc, v34, v5
	v_mov_b32_e32 v11, v7
	v_mov_b32_e32 v2, v9
	v_addc_co_u32_e32 v24, vcc, v35, v6, vcc
	v_lshlrev_b64 v[5:6], 2, v[10:11]
	v_mad_u64_u32 v[9:10], s[2:3], s21, v12, v[2:3]
	v_add_u32_e32 v7, 0x4e, v3
	v_mad_u64_u32 v[10:11], s[2:3], s20, v7, 0
	v_add_co_u32_e32 v26, vcc, v34, v5
	v_mov_b32_e32 v2, v11
	v_addc_co_u32_e32 v27, vcc, v35, v6, vcc
	v_lshlrev_b64 v[5:6], 2, v[8:9]
	v_mad_u64_u32 v[7:8], s[2:3], s21, v7, v[2:3]
	v_add_u32_e32 v12, 0x5b, v3
	v_mad_u64_u32 v[8:9], s[2:3], s20, v12, 0
	v_add_co_u32_e32 v28, vcc, v34, v5
	v_mov_b32_e32 v11, v7
	v_mov_b32_e32 v2, v9
	v_addc_co_u32_e32 v29, vcc, v35, v6, vcc
	v_lshlrev_b64 v[5:6], 2, v[10:11]
	v_mad_u64_u32 v[9:10], s[2:3], s21, v12, v[2:3]
	v_add_co_u32_e32 v10, vcc, v34, v5
	v_addc_co_u32_e32 v11, vcc, v35, v6, vcc
	v_lshlrev_b64 v[5:6], 2, v[8:9]
	v_add_u32_e32 v9, 0x68, v3
	v_mad_u64_u32 v[7:8], s[2:3], s20, v9, 0
	v_add_co_u32_e32 v30, vcc, v34, v5
	v_mov_b32_e32 v2, v8
	v_mad_u64_u32 v[8:9], s[2:3], s21, v9, v[2:3]
	v_addc_co_u32_e32 v31, vcc, v35, v6, vcc
	global_load_dword v18, v[14:15], off
	global_load_dword v25, v[19:20], off
	;; [unrolled: 1-line block ×8, first 2 shown]
	v_add_u32_e32 v12, 0x75, v3
	v_mad_u64_u32 v[32:33], s[2:3], s20, v12, 0
	v_lshlrev_b64 v[7:8], 2, v[7:8]
	v_mov_b32_e32 v10, v33
	v_mad_u64_u32 v[10:11], s[2:3], s21, v12, v[10:11]
	v_mad_u64_u32 v[11:12], s[2:3], s20, v16, 0
	v_mov_b32_e32 v33, v10
	v_add_co_u32_e32 v7, vcc, v34, v7
	v_mov_b32_e32 v10, v12
	v_mad_u64_u32 v[19:20], s[2:3], s21, v16, v[10:11]
	v_add_u32_e32 v16, 0x8f, v3
	v_mad_u64_u32 v[20:21], s[2:3], s20, v16, 0
	v_lshlrev_b64 v[14:15], 2, v[32:33]
	v_addc_co_u32_e32 v8, vcc, v35, v8, vcc
	v_mov_b32_e32 v12, v19
	v_add_co_u32_e32 v23, vcc, v34, v14
	v_lshlrev_b64 v[10:11], 2, v[11:12]
	v_mov_b32_e32 v12, v21
	v_addc_co_u32_e32 v24, vcc, v35, v15, vcc
	s_waitcnt vmcnt(4)
	v_mad_u64_u32 v[14:15], s[2:3], s21, v16, v[12:13]
	v_add_co_u32_e32 v15, vcc, v34, v10
	v_mov_b32_e32 v21, v14
	v_add_u32_e32 v12, 0x9c, v3
	v_addc_co_u32_e32 v16, vcc, v35, v11, vcc
	v_lshlrev_b64 v[10:11], 2, v[20:21]
	v_mad_u64_u32 v[20:21], s[2:3], s20, v12, 0
	v_add_co_u32_e32 v26, vcc, v34, v10
	v_mov_b32_e32 v10, v21
	v_addc_co_u32_e32 v27, vcc, v35, v11, vcc
	v_mad_u64_u32 v[11:12], s[2:3], s21, v12, v[10:11]
	global_load_dword v10, v[7:8], off
	global_load_dword v14, v[23:24], off
	;; [unrolled: 1-line block ×4, first 2 shown]
	v_lshrrev_b32_e32 v23, 16, v18
	v_mov_b32_e32 v21, v11
	v_lshlrev_b64 v[7:8], 2, v[20:21]
	v_lshrrev_b32_e32 v27, 16, v25
	v_add_co_u32_e32 v7, vcc, v34, v7
	v_addc_co_u32_e32 v8, vcc, v35, v8, vcc
	global_load_dword v28, v[7:8], off
	v_lshrrev_b32_e32 v24, 16, v17
	v_lshrrev_b32_e32 v20, 16, v13
	s_waitcnt vmcnt(8)
	v_lshrrev_b32_e32 v15, 16, v9
	s_waitcnt vmcnt(7)
	;; [unrolled: 2-line block ×9, first 2 shown]
	v_lshrrev_b32_e32 v29, 16, v28
.LBB0_14:
	s_or_b64 exec, exec, s[0:1]
	v_add_f16_e32 v30, v18, v25
	v_add_f16_e32 v31, v23, v27
	v_add_f16_e32 v30, v30, v17
	v_add_f16_e32 v31, v31, v24
	v_add_f16_e32 v30, v30, v13
	v_add_f16_e32 v31, v31, v20
	v_add_f16_e32 v30, v30, v9
	v_add_f16_e32 v31, v31, v15
	v_add_f16_e32 v30, v30, v6
	v_add_f16_e32 v31, v31, v11
	v_add_f16_e32 v30, v30, v2
	v_add_f16_e32 v31, v31, v7
	v_add_f16_e32 v30, v30, v5
	v_add_f16_e32 v31, v31, v8
	v_add_f16_e32 v30, v10, v30
	v_add_f16_e32 v31, v12, v31
	v_add_f16_e32 v30, v14, v30
	v_add_f16_e32 v31, v16, v31
	v_add_f16_e32 v30, v19, v30
	v_add_f16_e32 v31, v21, v31
	v_add_f16_e32 v30, v22, v30
	v_add_f16_e32 v31, v26, v31
	v_add_f16_e32 v30, v28, v30
	v_add_f16_sdwa v31, v29, v31 dst_sel:WORD_1 dst_unused:UNUSED_PAD src0_sel:DWORD src1_sel:DWORD
	v_or_b32_e32 v30, v31, v30
	v_add_f16_e32 v31, v25, v28
	v_sub_f16_e32 v25, v25, v28
	v_add_f16_e32 v28, v27, v29
	v_sub_f16_e32 v27, v27, v29
	s_movk_i32 s2, 0x3b15
	v_mul_f16_e32 v29, 0xb770, v27
	s_movk_i32 s3, 0x388b
	v_mul_f16_e32 v33, 0xba95, v27
	;; [unrolled: 2-line block ×3, first 2 shown]
	s_mov_b32 s13, 0xb5ac
	v_mul_f16_e32 v37, 0xbb7b, v27
	s_mov_b32 s20, 0xb9fd
	v_mul_f16_e32 v39, 0xb94e, v27
	v_mul_f16_e32 v27, 0xb3a8, v27
	s_mov_b32 s21, 0xbbc4
	v_fma_f16 v32, v31, s2, v29
	v_fma_f16 v29, v31, s2, -v29
	v_fma_f16 v34, v31, s3, v33
	v_fma_f16 v33, v31, s3, -v33
	;; [unrolled: 2-line block ×6, first 2 shown]
	v_add_f16_e32 v31, v18, v32
	v_add_f16_e32 v29, v18, v29
	;; [unrolled: 1-line block ×12, first 2 shown]
	v_mul_f16_e32 v27, 0xb770, v25
	v_mul_f16_e32 v42, 0xba95, v25
	;; [unrolled: 1-line block ×6, first 2 shown]
	v_fma_f16 v41, v28, s2, -v27
	v_fma_f16 v27, v28, s2, v27
	v_fma_f16 v43, v28, s3, -v42
	v_fma_f16 v42, v28, s3, v42
	;; [unrolled: 2-line block ×6, first 2 shown]
	v_add_f16_e32 v28, v23, v41
	v_add_f16_e32 v27, v23, v27
	;; [unrolled: 1-line block ×13, first 2 shown]
	v_sub_f16_e32 v17, v17, v22
	v_add_f16_e32 v22, v24, v26
	v_sub_f16_e32 v24, v24, v26
	v_mul_f16_e32 v26, 0xba95, v24
	v_fma_f16 v50, v25, s3, v26
	v_add_f16_e32 v31, v31, v50
	v_mul_f16_e32 v50, 0xba95, v17
	v_fma_f16 v26, v25, s3, -v26
	v_add_f16_e32 v26, v29, v26
	v_fma_f16 v29, v22, s3, v50
	v_add_f16_e32 v27, v27, v29
	v_mul_f16_e32 v29, 0xbb7b, v24
	v_fma_f16 v51, v22, s3, -v50
	v_fma_f16 v50, v25, s13, v29
	v_add_f16_e32 v32, v32, v50
	v_mul_f16_e32 v50, 0xbb7b, v17
	v_fma_f16 v29, v25, s13, -v29
	v_add_f16_e32 v29, v33, v29
	v_fma_f16 v33, v22, s13, v50
	v_add_f16_e32 v33, v42, v33
	v_mul_f16_e32 v42, 0xb3a8, v24
	v_add_f16_e32 v28, v28, v51
	v_fma_f16 v51, v22, s13, -v50
	v_fma_f16 v50, v25, s21, v42
	v_add_f16_e32 v34, v34, v50
	v_mul_f16_e32 v50, 0xb3a8, v17
	v_fma_f16 v42, v25, s21, -v42
	v_add_f16_e32 v35, v35, v42
	v_fma_f16 v42, v22, s21, v50
	v_add_f16_e32 v42, v44, v42
	v_mul_f16_e32 v44, 0x394e, v24
	v_add_f16_e32 v41, v41, v51
	;; [unrolled: 10-line block ×3, first 2 shown]
	v_fma_f16 v51, v22, s20, -v50
	v_fma_f16 v50, v25, s12, v46
	v_add_f16_e32 v38, v38, v50
	v_mul_f16_e32 v50, 0x3bf1, v17
	v_fma_f16 v46, v25, s12, -v46
	v_add_f16_e32 v39, v39, v46
	v_fma_f16 v46, v22, s12, v50
	v_mul_f16_e32 v24, 0x3770, v24
	v_add_f16_e32 v46, v48, v46
	v_fma_f16 v48, v25, s2, v24
	v_mul_f16_e32 v17, 0x3770, v17
	v_add_f16_e32 v45, v45, v51
	v_fma_f16 v51, v22, s12, -v50
	v_add_f16_e32 v40, v40, v48
	v_fma_f16 v48, v22, s2, -v17
	v_fma_f16 v17, v22, s2, v17
	v_add_f16_e32 v22, v13, v19
	v_sub_f16_e32 v13, v13, v19
	v_add_f16_e32 v19, v20, v21
	v_sub_f16_e32 v20, v20, v21
	v_fma_f16 v24, v25, s2, -v24
	v_mul_f16_e32 v21, 0xbbf1, v20
	v_add_f16_e32 v18, v18, v24
	v_add_f16_e32 v17, v23, v17
	v_fma_f16 v23, v22, s12, v21
	v_mul_f16_e32 v24, 0xbbf1, v13
	v_fma_f16 v21, v22, s12, -v21
	v_fma_f16 v25, v19, s12, -v24
	v_add_f16_e32 v21, v26, v21
	v_fma_f16 v24, v19, s12, v24
	v_mul_f16_e32 v26, 0xb3a8, v20
	v_add_f16_e32 v24, v27, v24
	v_fma_f16 v27, v22, s21, v26
	v_fma_f16 v26, v22, s21, -v26
	v_add_f16_e32 v26, v29, v26
	v_mul_f16_e32 v29, 0x3b7b, v20
	v_add_f16_e32 v25, v28, v25
	v_add_f16_e32 v27, v32, v27
	v_mul_f16_e32 v28, 0xb3a8, v13
	v_fma_f16 v32, v22, s13, v29
	v_fma_f16 v29, v22, s13, -v29
	v_add_f16_e32 v23, v31, v23
	v_fma_f16 v31, v19, s21, -v28
	v_fma_f16 v28, v19, s21, v28
	v_add_f16_e32 v29, v35, v29
	v_mul_f16_e32 v35, 0x3770, v20
	v_add_f16_e32 v31, v41, v31
	v_add_f16_e32 v28, v33, v28
	v_mul_f16_e32 v33, 0x3b7b, v13
	v_fma_f16 v41, v22, s2, v35
	v_add_f16_e32 v32, v34, v32
	v_fma_f16 v34, v19, s13, -v33
	v_fma_f16 v33, v19, s13, v33
	v_add_f16_e32 v36, v36, v41
	v_mul_f16_e32 v41, 0x3770, v13
	v_fma_f16 v35, v22, s2, -v35
	v_add_f16_e32 v33, v42, v33
	v_fma_f16 v42, v19, s2, -v41
	v_add_f16_e32 v35, v37, v35
	v_fma_f16 v37, v19, s2, v41
	v_mul_f16_e32 v41, 0xba95, v20
	v_add_f16_e32 v34, v43, v34
	v_fma_f16 v43, v22, s3, v41
	v_add_f16_e32 v38, v38, v43
	v_mul_f16_e32 v43, 0xba95, v13
	v_fma_f16 v41, v22, s3, -v41
	v_mul_f16_e32 v20, 0xb94e, v20
	v_add_f16_e32 v37, v44, v37
	v_fma_f16 v44, v19, s3, -v43
	v_add_f16_e32 v39, v39, v41
	v_fma_f16 v41, v19, s3, v43
	v_fma_f16 v43, v22, s20, v20
	v_mul_f16_e32 v13, 0xb94e, v13
	v_add_f16_e32 v40, v40, v43
	v_fma_f16 v43, v19, s20, -v13
	v_fma_f16 v13, v19, s20, v13
	v_add_f16_e32 v13, v17, v13
	v_add_f16_e32 v17, v9, v14
	v_sub_f16_e32 v9, v9, v14
	v_add_f16_e32 v14, v15, v16
	v_sub_f16_e32 v15, v15, v16
	v_mul_f16_e32 v16, 0xbb7b, v15
	v_fma_f16 v20, v22, s20, -v20
	v_fma_f16 v19, v17, s13, v16
	v_fma_f16 v16, v17, s13, -v16
	v_add_f16_e32 v18, v18, v20
	v_mul_f16_e32 v20, 0xbb7b, v9
	v_add_f16_e32 v16, v21, v16
	v_mul_f16_e32 v21, 0x394e, v15
	v_add_f16_e32 v19, v23, v19
	v_fma_f16 v22, v14, s13, -v20
	v_fma_f16 v20, v14, s13, v20
	v_fma_f16 v23, v17, s20, v21
	v_fma_f16 v21, v17, s20, -v21
	v_add_f16_e32 v20, v24, v20
	v_mul_f16_e32 v24, 0x394e, v9
	v_add_f16_e32 v21, v26, v21
	v_mul_f16_e32 v26, 0x3770, v15
	v_add_f16_e32 v22, v25, v22
	v_add_f16_e32 v23, v27, v23
	v_fma_f16 v25, v14, s20, -v24
	v_fma_f16 v24, v14, s20, v24
	v_fma_f16 v27, v17, s2, v26
	v_fma_f16 v26, v17, s2, -v26
	v_add_f16_e32 v24, v28, v24
	v_mul_f16_e32 v28, 0x3770, v9
	v_add_f16_e32 v26, v29, v26
	v_mul_f16_e32 v29, 0xbbf1, v15
	v_add_f16_e32 v25, v31, v25
	;; [unrolled: 10-line block ×3, first 2 shown]
	v_add_f16_e32 v32, v36, v32
	v_fma_f16 v34, v14, s12, -v33
	v_fma_f16 v33, v14, s12, v33
	v_fma_f16 v36, v17, s21, v35
	v_fma_f16 v35, v17, s21, -v35
	v_mul_f16_e32 v15, 0x3a95, v15
	v_add_f16_e32 v33, v37, v33
	v_mul_f16_e32 v37, 0x33a8, v9
	v_add_f16_e32 v35, v39, v35
	v_fma_f16 v39, v17, s3, v15
	v_mul_f16_e32 v9, 0x3a95, v9
	v_add_f16_e32 v39, v40, v39
	v_fma_f16 v40, v14, s3, -v9
	v_fma_f16 v9, v14, s3, v9
	v_add_f16_e32 v9, v13, v9
	v_add_f16_e32 v13, v6, v10
	v_sub_f16_e32 v6, v6, v10
	v_add_f16_e32 v10, v11, v12
	v_sub_f16_e32 v11, v11, v12
	v_mul_f16_e32 v12, 0xb94e, v11
	v_add_f16_e32 v36, v38, v36
	v_fma_f16 v38, v14, s21, -v37
	v_fma_f16 v37, v14, s21, v37
	v_fma_f16 v15, v17, s3, -v15
	v_fma_f16 v14, v13, s20, v12
	v_mul_f16_e32 v17, 0xb94e, v6
	v_fma_f16 v12, v13, s20, -v12
	v_add_f16_e32 v15, v18, v15
	v_fma_f16 v18, v10, s20, -v17
	v_add_f16_e32 v12, v16, v12
	v_fma_f16 v16, v10, s20, v17
	v_mul_f16_e32 v17, 0x3bf1, v11
	v_add_f16_e32 v14, v19, v14
	v_add_f16_e32 v16, v20, v16
	v_fma_f16 v19, v13, s12, v17
	v_mul_f16_e32 v20, 0x3bf1, v6
	v_fma_f16 v17, v13, s12, -v17
	v_add_f16_e32 v18, v22, v18
	v_fma_f16 v22, v10, s12, -v20
	v_add_f16_e32 v17, v21, v17
	v_fma_f16 v20, v10, s12, v20
	v_mul_f16_e32 v21, 0xba95, v11
	v_add_f16_e32 v19, v23, v19
	v_add_f16_e32 v20, v24, v20
	v_fma_f16 v23, v13, s3, v21
	v_mul_f16_e32 v24, 0xba95, v6
	v_fma_f16 v21, v13, s3, -v21
	v_add_f16_e32 v22, v25, v22
	v_fma_f16 v25, v10, s3, -v24
	v_add_f16_e32 v21, v26, v21
	v_fma_f16 v24, v10, s3, v24
	v_mul_f16_e32 v26, 0x33a8, v11
	v_add_f16_e32 v23, v27, v23
	v_add_f16_e32 v24, v28, v24
	v_fma_f16 v27, v13, s21, v26
	v_mul_f16_e32 v28, 0x33a8, v6
	v_fma_f16 v26, v13, s21, -v26
	v_add_f16_e32 v25, v31, v25
	v_fma_f16 v31, v10, s21, -v28
	v_add_f16_e32 v26, v29, v26
	v_fma_f16 v28, v10, s21, v28
	v_mul_f16_e32 v29, 0x3770, v11
	v_add_f16_e32 v27, v32, v27
	v_add_f16_e32 v28, v33, v28
	v_fma_f16 v32, v13, s2, v29
	v_mul_f16_e32 v33, 0x3770, v6
	v_mul_f16_e32 v6, 0xbb7b, v6
	v_add_f16_e32 v32, v36, v32
	v_fma_f16 v36, v10, s13, -v6
	v_fma_f16 v6, v10, s13, v6
	v_add_f16_e32 v42, v45, v42
	v_add_f16_e32 v6, v9, v6
	;; [unrolled: 1-line block ×3, first 2 shown]
	v_sub_f16_e32 v2, v2, v5
	v_add_f16_e32 v5, v7, v8
	v_sub_f16_e32 v7, v7, v8
	v_add_f16_e32 v34, v42, v34
	v_fma_f16 v29, v13, s2, -v29
	v_mul_f16_e32 v11, 0xbb7b, v11
	v_mul_f16_e32 v8, 0xb3a8, v7
	v_add_f16_e32 v31, v34, v31
	v_fma_f16 v34, v10, s2, -v33
	v_add_f16_e32 v29, v35, v29
	v_fma_f16 v33, v10, s2, v33
	v_fma_f16 v35, v13, s13, v11
	v_fma_f16 v11, v13, s13, -v11
	v_fma_f16 v10, v9, s21, v8
	v_mul_f16_e32 v13, 0xb3a8, v2
	v_fma_f16 v8, v9, s21, -v8
	v_add_f16_e32 v10, v14, v10
	v_fma_f16 v14, v5, s21, -v13
	v_add_f16_e32 v8, v12, v8
	v_fma_f16 v12, v5, s21, v13
	v_mul_f16_e32 v13, 0x3770, v7
	v_add_f16_e32 v11, v15, v11
	v_add_f16_e32 v12, v16, v12
	v_fma_f16 v15, v9, s2, v13
	v_mul_f16_e32 v16, 0x3770, v2
	v_fma_f16 v13, v9, s2, -v13
	v_add_f16_e32 v14, v18, v14
	v_fma_f16 v18, v5, s2, -v16
	v_add_f16_e32 v13, v17, v13
	v_fma_f16 v16, v5, s2, v16
	v_mul_f16_e32 v17, 0xb94e, v7
	v_add_f16_e32 v15, v19, v15
	v_add_f16_e32 v16, v20, v16
	;; [unrolled: 10-line block ×4, first 2 shown]
	v_add_f16_e32 v24, v28, v24
	v_fma_f16 v27, v9, s13, v26
	v_mul_f16_e32 v28, 0xbb7b, v2
	v_mul_f16_e32 v2, 0x3bf1, v2
	v_add_f16_e32 v48, v49, v48
	v_add_f16_e32 v44, v47, v44
	;; [unrolled: 1-line block ×3, first 2 shown]
	v_fma_f16 v32, v5, s12, -v2
	v_fma_f16 v2, v5, s12, v2
	s_load_dwordx2 s[0:1], s[18:19], 0x0
	s_movk_i32 s18, 0x270
	v_add_f16_e32 v43, v48, v43
	v_add_f16_e32 v38, v44, v38
	;; [unrolled: 1-line block ×3, first 2 shown]
	v_fma_f16 v31, v5, s13, -v28
	v_fma_f16 v26, v9, s13, -v26
	v_fma_f16 v28, v5, s13, v28
	v_mul_f16_e32 v7, 0x3bf1, v7
	v_add_f16_e32 v5, v6, v2
	v_mad_u32_u24 v2, v3, s18, 0
	v_add_f16_e32 v41, v46, v41
	v_add_f16_e32 v40, v43, v40
	;; [unrolled: 1-line block ×4, first 2 shown]
	v_fma_f16 v29, v9, s12, v7
	v_fma_f16 v7, v9, s12, -v7
	v_pack_b32_f16 v6, v10, v14
	v_lshl_add_u32 v9, v4, 2, v2
	v_add_f16_e32 v37, v41, v37
	v_add_f16_e32 v35, v39, v35
	;; [unrolled: 1-line block ×4, first 2 shown]
	ds_write2_b32 v9, v30, v6 offset1:12
	v_pack_b32_f16 v6, v15, v18
	v_pack_b32_f16 v10, v19, v22
	v_add_f16_e32 v33, v37, v33
	v_add_f16_e32 v29, v35, v29
	;; [unrolled: 1-line block ×4, first 2 shown]
	ds_write2_b32 v9, v6, v10 offset0:24 offset1:36
	v_pack_b32_f16 v6, v23, v25
	v_pack_b32_f16 v10, v27, v31
	v_add_f16_e32 v28, v33, v28
	ds_write2_b32 v9, v6, v10 offset0:48 offset1:60
	v_pack_b32_f16 v6, v29, v32
	v_pack_b32_f16 v5, v7, v5
	ds_write2_b32 v9, v6, v5 offset0:72 offset1:84
	v_pack_b32_f16 v5, v26, v28
	v_pack_b32_f16 v6, v21, v24
	;; [unrolled: 3-line block ×3, first 2 shown]
	ds_write2_b32 v9, v5, v6 offset0:120 offset1:132
	v_pack_b32_f16 v5, v8, v12
	ds_write_b32 v9, v5 offset:576
	s_waitcnt lgkmcnt(0)
	s_barrier
	s_and_saveexec_b64 s[18:19], s[6:7]
	s_cbranch_execz .LBB0_16
; %bb.15:
	v_mul_lo_u16_e32 v5, 20, v3
	v_mov_b32_e32 v6, 13
	v_mul_lo_u16_sdwa v5, v5, v6 dst_sel:DWORD dst_unused:UNUSED_PAD src0_sel:BYTE_1 src1_sel:DWORD
	v_sub_u16_e32 v5, v3, v5
	v_and_b32_e32 v5, 0xff, v5
	v_mul_u32_u24_e32 v6, 12, v5
	v_lshlrev_b32_e32 v6, 2, v6
	global_load_dwordx4 v[10:13], v6, s[26:27] offset:16
	global_load_dwordx4 v[36:39], v6, s[26:27]
	global_load_dwordx4 v[40:43], v6, s[26:27] offset:32
	v_mul_i32_i24_e32 v3, 0xfffffdc0, v3
	v_lshlrev_b32_e32 v6, 2, v4
	v_add3_u32 v46, v2, v3, v6
	v_add_u32_e32 v2, 0xe00, v46
	v_add_u32_e32 v6, 0x900, v46
	;; [unrolled: 1-line block ×5, first 2 shown]
	ds_read2_b32 v[2:3], v2 offset0:40 offset1:196
	ds_read2_b32 v[14:15], v6 offset0:48 offset1:204
	ds_read2_b32 v[19:20], v7 offset0:96 offset1:252
	ds_read2_b32 v[44:45], v8 offset0:56 offset1:212
	ds_read2_b32 v[32:33], v9 offset0:24 offset1:180
	v_add_u32_e32 v6, 0x9c, v5
	v_mul_lo_u32 v6, v1, v6
	v_mov_b32_e32 v34, 2
	s_waitcnt lgkmcnt(4)
	v_lshrrev_b32_e32 v8, 16, v2
	v_lshrrev_b32_e32 v9, 16, v3
	v_lshlrev_b32_sdwa v7, v34, v6 dst_sel:DWORD dst_unused:UNUSED_PAD src0_sel:DWORD src1_sel:BYTE_2
	v_lshlrev_b32_sdwa v16, v34, v6 dst_sel:DWORD dst_unused:UNUSED_PAD src0_sel:DWORD src1_sel:BYTE_0
	v_lshlrev_b32_sdwa v6, v34, v6 dst_sel:DWORD dst_unused:UNUSED_PAD src0_sel:DWORD src1_sel:BYTE_1
	global_load_dword v48, v7, s[16:17] offset:2048
	global_load_dword v49, v16, s[16:17]
	global_load_dword v50, v6, s[16:17] offset:1024
	s_waitcnt lgkmcnt(3)
	v_lshrrev_b32_e32 v18, 16, v15
	s_waitcnt lgkmcnt(2)
	v_lshrrev_b32_e32 v21, 16, v19
	v_lshrrev_b32_e32 v22, 16, v14
	;; [unrolled: 1-line block ×3, first 2 shown]
	s_waitcnt lgkmcnt(1)
	v_lshrrev_b32_e32 v24, 16, v45
	v_lshrrev_b32_e32 v35, 16, v44
	s_waitcnt lgkmcnt(0)
	v_lshrrev_b32_e32 v25, 16, v32
	v_lshrrev_b32_e32 v47, 16, v33
	v_add_u32_e32 v70, 0x68, v5
	v_add_u32_e32 v71, 0x5b, v5
	v_mul_lo_u32 v70, v1, v70
	v_mul_lo_u32 v74, v1, v71
	v_add_u32_e32 v131, 0x41, v5
	v_mul_lo_u32 v131, v1, v131
	v_lshlrev_b32_sdwa v71, v34, v70 dst_sel:DWORD dst_unused:UNUSED_PAD src0_sel:DWORD src1_sel:BYTE_2
	v_lshlrev_b32_sdwa v72, v34, v70 dst_sel:DWORD dst_unused:UNUSED_PAD src0_sel:DWORD src1_sel:BYTE_0
	v_lshlrev_b32_sdwa v70, v34, v70 dst_sel:DWORD dst_unused:UNUSED_PAD src0_sel:DWORD src1_sel:BYTE_1
	v_lshlrev_b32_sdwa v73, v34, v74 dst_sel:DWORD dst_unused:UNUSED_PAD src0_sel:DWORD src1_sel:BYTE_2
	v_lshlrev_b32_sdwa v134, v34, v131 dst_sel:DWORD dst_unused:UNUSED_PAD src0_sel:DWORD src1_sel:BYTE_2
	v_lshlrev_b32_sdwa v135, v34, v131 dst_sel:DWORD dst_unused:UNUSED_PAD src0_sel:DWORD src1_sel:BYTE_0
	v_lshlrev_b32_sdwa v131, v34, v131 dst_sel:DWORD dst_unused:UNUSED_PAD src0_sel:DWORD src1_sel:BYTE_1
	s_mul_i32 s1, s1, s24
	s_waitcnt vmcnt(5)
	v_mul_f16_sdwa v17, v8, v11 dst_sel:DWORD dst_unused:UNUSED_PAD src0_sel:DWORD src1_sel:WORD_1
	v_mul_f16_sdwa v26, v9, v12 dst_sel:DWORD dst_unused:UNUSED_PAD src0_sel:DWORD src1_sel:WORD_1
	;; [unrolled: 1-line block ×7, first 2 shown]
	s_waitcnt vmcnt(4)
	v_mul_f16_sdwa v52, v22, v39 dst_sel:DWORD dst_unused:UNUSED_PAD src0_sel:DWORD src1_sel:WORD_1
	s_waitcnt vmcnt(3)
	v_mul_f16_sdwa v53, v23, v40 dst_sel:DWORD dst_unused:UNUSED_PAD src0_sel:DWORD src1_sel:WORD_1
	v_mul_f16_sdwa v55, v20, v40 dst_sel:DWORD dst_unused:UNUSED_PAD src0_sel:DWORD src1_sel:WORD_1
	v_mul_f16_sdwa v56, v38, v24 dst_sel:DWORD dst_unused:UNUSED_PAD src0_sel:WORD_1 src1_sel:DWORD
	v_mul_f16_sdwa v58, v38, v45 dst_sel:DWORD dst_unused:UNUSED_PAD src0_sel:WORD_1 src1_sel:DWORD
	v_fma_f16 v6, v2, v11, v17
	v_add_u32_e32 v2, 0x8f, v5
	v_mul_f16_sdwa v51, v19, v13 dst_sel:DWORD dst_unused:UNUSED_PAD src0_sel:DWORD src1_sel:WORD_1
	v_mul_f16_sdwa v54, v39, v14 dst_sel:DWORD dst_unused:UNUSED_PAD src0_sel:WORD_1 src1_sel:DWORD
	v_fma_f16 v7, v3, v12, v26
	v_fma_f16 v16, v8, v11, -v27
	v_fma_f16 v17, v9, v12, -v28
	v_fma_f16 v9, v15, v10, v29
	v_fma_f16 v8, v19, v13, v30
	v_fma_f16 v19, v18, v10, -v31
	v_fma_f16 v12, v39, v14, v52
	v_fma_f16 v10, v20, v40, v53
	v_fma_f16 v20, v23, v40, -v55
	v_fma_f16 v14, v38, v45, v56
	v_fma_f16 v23, v38, v24, -v58
	v_mul_lo_u32 v38, v1, v2
	v_fma_f16 v22, v22, v39, -v54
	v_mul_f16_sdwa v2, v37, v44 dst_sel:DWORD dst_unused:UNUSED_PAD src0_sel:WORD_1 src1_sel:DWORD
	v_mul_f16_sdwa v60, v37, v35 dst_sel:DWORD dst_unused:UNUSED_PAD src0_sel:WORD_1 src1_sel:DWORD
	v_lshlrev_b32_sdwa v39, v34, v38 dst_sel:DWORD dst_unused:UNUSED_PAD src0_sel:DWORD src1_sel:BYTE_2
	v_fma_f16 v35, v37, v35, -v2
	ds_read2_b32 v[2:3], v46 offset1:156
	v_lshlrev_b32_sdwa v40, v34, v38 dst_sel:DWORD dst_unused:UNUSED_PAD src0_sel:DWORD src1_sel:BYTE_0
	v_lshlrev_b32_sdwa v38, v34, v38 dst_sel:DWORD dst_unused:UNUSED_PAD src0_sel:DWORD src1_sel:BYTE_1
	global_load_dword v54, v39, s[16:17] offset:2048
	global_load_dword v55, v40, s[16:17]
	global_load_dword v58, v38, s[16:17] offset:1024
	v_mul_f16_sdwa v57, v25, v41 dst_sel:DWORD dst_unused:UNUSED_PAD src0_sel:DWORD src1_sel:WORD_1
	v_mul_f16_sdwa v59, v32, v41 dst_sel:DWORD dst_unused:UNUSED_PAD src0_sel:DWORD src1_sel:WORD_1
	v_fma_f16 v18, v21, v13, -v51
	v_fma_f16 v11, v32, v41, v57
	v_fma_f16 v21, v25, v41, -v59
	ds_read_b32 v41, v46 offset:7488
	v_mul_f16_sdwa v61, v47, v42 dst_sel:DWORD dst_unused:UNUSED_PAD src0_sel:DWORD src1_sel:WORD_1
	v_fma_f16 v13, v33, v42, v61
	v_mul_f16_sdwa v33, v33, v42 dst_sel:DWORD dst_unused:UNUSED_PAD src0_sel:DWORD src1_sel:WORD_1
	v_fma_f16 v15, v37, v44, v60
	v_fma_f16 v37, v47, v42, -v33
	s_waitcnt lgkmcnt(1)
	v_lshrrev_b32_e32 v33, 16, v3
	v_mul_f16_sdwa v38, v36, v3 dst_sel:DWORD dst_unused:UNUSED_PAD src0_sel:WORD_1 src1_sel:DWORD
	v_add_u32_e32 v42, 0x82, v5
	v_fma_f16 v39, v36, v33, -v38
	v_mul_f16_sdwa v33, v36, v33 dst_sel:DWORD dst_unused:UNUSED_PAD src0_sel:WORD_1 src1_sel:DWORD
	v_mul_lo_u32 v56, v1, v42
	v_fma_f16 v38, v36, v3, v33
	s_waitcnt lgkmcnt(0)
	v_lshrrev_b32_e32 v33, 16, v41
	v_mul_f16_sdwa v36, v33, v43 dst_sel:DWORD dst_unused:UNUSED_PAD src0_sel:DWORD src1_sel:WORD_1
	v_fma_f16 v36, v41, v43, v36
	v_mul_f16_sdwa v41, v41, v43 dst_sel:DWORD dst_unused:UNUSED_PAD src0_sel:DWORD src1_sel:WORD_1
	v_fma_f16 v41, v33, v43, -v41
	v_lshlrev_b32_sdwa v33, v34, v56 dst_sel:DWORD dst_unused:UNUSED_PAD src0_sel:DWORD src1_sel:BYTE_2
	v_lshlrev_b32_sdwa v42, v34, v56 dst_sel:DWORD dst_unused:UNUSED_PAD src0_sel:DWORD src1_sel:BYTE_0
	global_load_dword v62, v33, s[16:17] offset:2048
	global_load_dword v63, v42, s[16:17]
	s_waitcnt vmcnt(6)
	v_lshrrev_b32_e32 v33, 16, v49
	s_waitcnt vmcnt(5)
	v_mul_f16_sdwa v42, v33, v50 dst_sel:DWORD dst_unused:UNUSED_PAD src0_sel:DWORD src1_sel:WORD_1
	v_fma_f16 v43, v49, v50, -v42
	v_mul_f16_sdwa v42, v49, v50 dst_sel:DWORD dst_unused:UNUSED_PAD src0_sel:DWORD src1_sel:WORD_1
	v_fma_f16 v33, v33, v50, v42
	v_mul_f16_sdwa v44, v33, v48 dst_sel:DWORD dst_unused:UNUSED_PAD src0_sel:DWORD src1_sel:WORD_1
	v_sub_f16_e32 v103, v38, v36
	v_fma_f16 v59, v48, v43, -v44
	v_mul_f16_sdwa v43, v43, v48 dst_sel:DWORD dst_unused:UNUSED_PAD src0_sel:DWORD src1_sel:WORD_1
	v_sub_f16_e32 v92, v15, v13
	v_mul_f16_e32 v42, 0xb770, v103
	v_fma_f16 v33, v48, v33, v43
	v_add_f16_e32 v43, v39, v41
	v_sub_f16_e32 v91, v14, v11
	v_mul_f16_e32 v32, 0xba95, v92
	v_add_f16_e32 v40, v35, v37
	v_fma_f16 v44, v43, s2, v42
	v_sub_f16_e32 v90, v12, v10
	v_add_f16_e32 v27, v23, v21
	v_mul_f16_e32 v31, 0xbbf1, v91
	v_fma_f16 v3, v40, s3, v32
	v_add_f16_sdwa v44, v44, v2 dst_sel:DWORD dst_unused:UNUSED_PAD src0_sel:DWORD src1_sel:WORD_1
	v_sub_f16_e32 v89, v9, v8
	v_add_f16_e32 v26, v22, v20
	v_mul_f16_e32 v30, 0xbb7b, v90
	v_add_f16_e32 v3, v3, v44
	v_fma_f16 v44, v27, s12, v31
	v_sub_f16_e32 v88, v6, v7
	v_add_f16_e32 v25, v19, v18
	v_mul_f16_e32 v29, 0xb94e, v89
	v_add_f16_e32 v3, v44, v3
	v_fma_f16 v44, v26, s13, v30
	v_add_f16_e32 v24, v16, v17
	v_mul_f16_e32 v28, 0xb3a8, v88
	v_add_f16_e32 v3, v44, v3
	v_fma_f16 v44, v25, s20, v29
	v_add_f16_e32 v3, v44, v3
	v_fma_f16 v44, v24, s21, v28
	v_sub_f16_e32 v104, v39, v41
	v_add_f16_e32 v60, v44, v3
	v_add_f16_e32 v44, v38, v36
	v_mul_f16_e32 v45, 0xb770, v104
	v_sub_f16_e32 v106, v35, v37
	v_fma_f16 v3, v44, s2, -v45
	v_add_f16_e32 v46, v15, v13
	v_mul_f16_e32 v47, 0xba95, v106
	v_add_f16_e32 v3, v3, v2
	v_fma_f16 v48, v46, s3, -v47
	v_sub_f16_e32 v105, v23, v21
	v_add_f16_e32 v3, v48, v3
	v_add_f16_e32 v48, v14, v11
	v_mul_f16_e32 v49, 0xbbf1, v105
	v_fma_f16 v50, v48, s12, -v49
	v_sub_f16_e32 v107, v22, v20
	v_add_f16_e32 v3, v50, v3
	v_add_f16_e32 v50, v12, v10
	v_mul_f16_e32 v51, 0xbb7b, v107
	;; [unrolled: 5-line block ×3, first 2 shown]
	v_lshlrev_b32_sdwa v56, v34, v56 dst_sel:DWORD dst_unused:UNUSED_PAD src0_sel:DWORD src1_sel:BYTE_1
	v_fma_f16 v57, v52, s20, -v53
	global_load_dword v65, v56, s[16:17] offset:1024
	v_sub_f16_e32 v111, v16, v17
	v_add_f16_e32 v3, v57, v3
	v_add_f16_e32 v56, v6, v7
	v_mul_f16_e32 v57, 0xb3a8, v111
	v_fma_f16 v61, v56, s21, -v57
	v_add_f16_e32 v61, v61, v3
	v_mul_f16_e32 v3, v61, v33
	v_mul_f16_e32 v33, v60, v33
	v_fma_f16 v3, v60, v59, -v3
	v_fma_f16 v33, v61, v59, v33
	s_waitcnt vmcnt(4)
	v_lshrrev_b32_e32 v59, 16, v55
	s_waitcnt vmcnt(3)
	v_mul_f16_sdwa v60, v59, v58 dst_sel:DWORD dst_unused:UNUSED_PAD src0_sel:DWORD src1_sel:WORD_1
	v_fma_f16 v60, v55, v58, -v60
	v_mul_f16_sdwa v55, v55, v58 dst_sel:DWORD dst_unused:UNUSED_PAD src0_sel:DWORD src1_sel:WORD_1
	v_fma_f16 v55, v59, v58, v55
	v_mul_f16_sdwa v58, v55, v54 dst_sel:DWORD dst_unused:UNUSED_PAD src0_sel:DWORD src1_sel:WORD_1
	v_fma_f16 v66, v54, v60, -v58
	v_mul_f16_sdwa v58, v60, v54 dst_sel:DWORD dst_unused:UNUSED_PAD src0_sel:DWORD src1_sel:WORD_1
	v_fma_f16 v55, v54, v55, v58
	v_mul_f16_e32 v58, 0xba95, v103
	v_fma_f16 v54, v43, s3, v58
	v_mul_f16_e32 v61, 0xbb7b, v92
	v_add_f16_sdwa v54, v54, v2 dst_sel:DWORD dst_unused:UNUSED_PAD src0_sel:DWORD src1_sel:WORD_1
	v_fma_f16 v59, v40, s13, v61
	v_add_f16_e32 v54, v59, v54
	v_mul_f16_e32 v59, 0xb3a8, v91
	v_fma_f16 v60, v27, s21, v59
	v_add_f16_e32 v54, v60, v54
	v_mul_f16_e32 v60, 0x394e, v90
	v_fma_f16 v64, v26, s20, v60
	v_add_f16_e32 v54, v64, v54
	v_add_u32_e32 v64, 0x75, v5
	v_mul_lo_u32 v67, v1, v64
	v_mul_f16_e32 v64, 0x3bf1, v89
	v_fma_f16 v68, v25, s12, v64
	v_add_f16_e32 v54, v68, v54
	v_lshlrev_b32_sdwa v68, v34, v67 dst_sel:DWORD dst_unused:UNUSED_PAD src0_sel:DWORD src1_sel:BYTE_0
	v_lshlrev_b32_sdwa v69, v34, v67 dst_sel:DWORD dst_unused:UNUSED_PAD src0_sel:DWORD src1_sel:BYTE_1
	v_lshlrev_b32_sdwa v67, v34, v67 dst_sel:DWORD dst_unused:UNUSED_PAD src0_sel:DWORD src1_sel:BYTE_2
	global_load_dword v75, v68, s[16:17]
	global_load_dword v93, v69, s[16:17] offset:1024
	global_load_dword v112, v71, s[16:17] offset:2048
	global_load_dword v113, v72, s[16:17]
	global_load_dword v114, v70, s[16:17] offset:1024
	global_load_dword v124, v73, s[16:17] offset:2048
	global_load_dword v94, v67, s[16:17] offset:2048
	v_mul_f16_e32 v67, 0x3770, v88
	v_fma_f16 v68, v24, s2, v67
	v_add_f16_e32 v76, v68, v54
	v_mul_f16_e32 v68, 0xba95, v104
	v_fma_f16 v54, v44, s3, -v68
	v_mul_f16_e32 v71, 0xbb7b, v106
	v_add_f16_e32 v54, v54, v2
	v_fma_f16 v69, v46, s13, -v71
	v_add_f16_e32 v54, v69, v54
	v_mul_f16_e32 v69, 0xb3a8, v105
	v_fma_f16 v70, v48, s21, -v69
	v_add_f16_e32 v54, v70, v54
	v_mul_f16_e32 v70, 0x394e, v107
	;; [unrolled: 3-line block ×5, first 2 shown]
	v_mul_f16_e32 v55, v76, v55
	v_fma_f16 v54, v76, v66, -v54
	v_fma_f16 v55, v77, v66, v55
	s_waitcnt vmcnt(8)
	v_lshrrev_b32_e32 v66, 16, v63
	v_mul_f16_e32 v78, 0xbbf1, v103
	v_mul_f16_e32 v81, 0xb3a8, v92
	;; [unrolled: 1-line block ×13, first 2 shown]
	s_waitcnt vmcnt(7)
	v_mul_f16_sdwa v76, v66, v65 dst_sel:DWORD dst_unused:UNUSED_PAD src0_sel:DWORD src1_sel:WORD_1
	v_fma_f16 v76, v63, v65, -v76
	v_mul_f16_sdwa v63, v63, v65 dst_sel:DWORD dst_unused:UNUSED_PAD src0_sel:DWORD src1_sel:WORD_1
	v_fma_f16 v63, v66, v65, v63
	v_mul_f16_sdwa v65, v63, v62 dst_sel:DWORD dst_unused:UNUSED_PAD src0_sel:DWORD src1_sel:WORD_1
	v_mul_f16_sdwa v66, v76, v62 dst_sel:DWORD dst_unused:UNUSED_PAD src0_sel:DWORD src1_sel:WORD_1
	v_fma_f16 v65, v62, v76, -v65
	v_fma_f16 v63, v62, v63, v66
	v_fma_f16 v62, v43, s12, v78
	v_add_f16_sdwa v62, v62, v2 dst_sel:DWORD dst_unused:UNUSED_PAD src0_sel:DWORD src1_sel:WORD_1
	v_fma_f16 v66, v40, s21, v81
	v_add_f16_e32 v62, v66, v62
	v_fma_f16 v66, v27, s13, v79
	v_add_f16_e32 v62, v66, v62
	;; [unrolled: 2-line block ×5, first 2 shown]
	v_fma_f16 v62, v44, s12, -v84
	v_add_f16_e32 v62, v62, v2
	v_fma_f16 v76, v46, s21, -v87
	v_add_f16_e32 v62, v76, v62
	;; [unrolled: 2-line block ×4, first 2 shown]
	v_mul_f16_e32 v76, 0xba95, v108
	v_fma_f16 v77, v52, s3, -v76
	v_add_f16_e32 v62, v77, v62
	v_mul_f16_e32 v77, 0xb94e, v111
	v_fma_f16 v95, v56, s20, -v77
	v_add_f16_e32 v95, v95, v62
	v_mul_f16_e32 v62, v95, v63
	v_mul_f16_e32 v63, v66, v63
	v_fma_f16 v62, v66, v65, -v62
	v_fma_f16 v63, v95, v65, v63
	s_waitcnt vmcnt(6)
	v_lshrrev_b32_e32 v65, 16, v75
	s_waitcnt vmcnt(5)
	v_mul_f16_sdwa v66, v65, v93 dst_sel:DWORD dst_unused:UNUSED_PAD src0_sel:DWORD src1_sel:WORD_1
	v_fma_f16 v66, v75, v93, -v66
	v_mul_f16_sdwa v75, v75, v93 dst_sel:DWORD dst_unused:UNUSED_PAD src0_sel:DWORD src1_sel:WORD_1
	v_fma_f16 v65, v65, v93, v75
	s_waitcnt vmcnt(0)
	v_mul_f16_sdwa v75, v65, v94 dst_sel:DWORD dst_unused:UNUSED_PAD src0_sel:DWORD src1_sel:WORD_1
	v_fma_f16 v75, v94, v66, -v75
	v_mul_f16_sdwa v66, v66, v94 dst_sel:DWORD dst_unused:UNUSED_PAD src0_sel:DWORD src1_sel:WORD_1
	v_fma_f16 v66, v94, v65, v66
	v_fma_f16 v65, v43, s13, v109
	v_add_f16_sdwa v65, v65, v2 dst_sel:DWORD dst_unused:UNUSED_PAD src0_sel:DWORD src1_sel:WORD_1
	v_fma_f16 v93, v40, s20, v110
	v_add_f16_e32 v65, v93, v65
	v_mul_f16_e32 v93, 0x3770, v91
	v_fma_f16 v94, v27, s2, v93
	v_add_f16_e32 v65, v94, v65
	v_mul_f16_e32 v94, 0xbbf1, v90
	v_fma_f16 v95, v26, s12, v94
	v_add_f16_e32 v65, v95, v65
	v_mul_f16_e32 v95, 0x33a8, v89
	v_fma_f16 v96, v25, s21, v95
	v_add_f16_e32 v65, v96, v65
	v_mul_f16_e32 v96, 0x3a95, v88
	v_fma_f16 v97, v24, s3, v96
	v_add_f16_e32 v115, v97, v65
	v_mul_f16_e32 v97, 0xbb7b, v104
	v_fma_f16 v65, v44, s13, -v97
	v_add_f16_e32 v65, v65, v2
	v_fma_f16 v98, v46, s20, -v99
	v_add_f16_e32 v65, v98, v65
	v_mul_f16_e32 v98, 0x3770, v105
	v_fma_f16 v100, v48, s2, -v98
	v_add_f16_e32 v65, v100, v65
	v_lshlrev_b32_sdwa v100, v34, v74 dst_sel:DWORD dst_unused:UNUSED_PAD src0_sel:DWORD src1_sel:BYTE_0
	v_lshlrev_b32_sdwa v74, v34, v74 dst_sel:DWORD dst_unused:UNUSED_PAD src0_sel:DWORD src1_sel:BYTE_1
	global_load_dword v125, v100, s[16:17]
	global_load_dword v126, v74, s[16:17] offset:1024
	v_mul_f16_e32 v100, 0xbbf1, v107
	v_fma_f16 v74, v50, s12, -v100
	v_mul_f16_e32 v101, 0x33a8, v108
	v_add_f16_e32 v65, v74, v65
	v_fma_f16 v74, v52, s21, -v101
	v_mul_f16_e32 v102, 0x3a95, v111
	v_add_f16_e32 v65, v74, v65
	v_fma_f16 v74, v56, s3, -v102
	v_add_f16_e32 v74, v74, v65
	v_mul_f16_e32 v65, v74, v66
	v_mul_f16_e32 v66, v115, v66
	v_fma_f16 v66, v74, v75, v66
	v_lshrrev_b32_e32 v74, 16, v113
	v_fma_f16 v65, v115, v75, -v65
	v_mul_f16_sdwa v75, v74, v114 dst_sel:DWORD dst_unused:UNUSED_PAD src0_sel:DWORD src1_sel:WORD_1
	v_fma_f16 v75, v113, v114, -v75
	v_mul_f16_sdwa v113, v113, v114 dst_sel:DWORD dst_unused:UNUSED_PAD src0_sel:DWORD src1_sel:WORD_1
	v_fma_f16 v74, v74, v114, v113
	v_mul_f16_sdwa v113, v74, v112 dst_sel:DWORD dst_unused:UNUSED_PAD src0_sel:DWORD src1_sel:WORD_1
	v_fma_f16 v127, v112, v75, -v113
	v_mul_f16_sdwa v75, v75, v112 dst_sel:DWORD dst_unused:UNUSED_PAD src0_sel:DWORD src1_sel:WORD_1
	v_fma_f16 v75, v112, v74, v75
	v_mul_f16_e32 v112, 0xb94e, v103
	v_fma_f16 v74, v43, s20, v112
	v_mul_f16_e32 v115, 0x3bf1, v92
	v_add_f16_sdwa v74, v74, v2 dst_sel:DWORD dst_unused:UNUSED_PAD src0_sel:DWORD src1_sel:WORD_1
	v_fma_f16 v113, v40, s12, v115
	v_add_f16_e32 v74, v113, v74
	v_mul_f16_e32 v113, 0xba95, v91
	v_fma_f16 v114, v27, s3, v113
	v_add_f16_e32 v74, v114, v74
	v_mul_f16_e32 v114, 0x33a8, v90
	;; [unrolled: 3-line block ×5, first 2 shown]
	v_fma_f16 v74, v44, s20, -v118
	v_mul_f16_e32 v121, 0x3bf1, v106
	v_add_f16_e32 v74, v74, v2
	v_fma_f16 v119, v46, s12, -v121
	v_add_f16_e32 v74, v119, v74
	v_mul_f16_e32 v119, 0xba95, v105
	v_fma_f16 v120, v48, s3, -v119
	v_add_f16_e32 v74, v120, v74
	v_mul_f16_e32 v120, 0x33a8, v107
	;; [unrolled: 3-line block ×4, first 2 shown]
	v_fma_f16 v129, v56, s13, -v123
	v_add_f16_e32 v129, v129, v74
	v_add_u32_e32 v74, 0x4e, v5
	v_mul_lo_u32 v74, v1, v74
	v_mul_f16_e32 v130, v129, v75
	v_mul_f16_e32 v75, v128, v75
	v_fma_f16 v75, v129, v127, v75
	v_lshlrev_b32_sdwa v132, v34, v74 dst_sel:DWORD dst_unused:UNUSED_PAD src0_sel:DWORD src1_sel:BYTE_0
	v_lshlrev_b32_sdwa v133, v34, v74 dst_sel:DWORD dst_unused:UNUSED_PAD src0_sel:DWORD src1_sel:BYTE_1
	v_lshlrev_b32_sdwa v74, v34, v74 dst_sel:DWORD dst_unused:UNUSED_PAD src0_sel:DWORD src1_sel:BYTE_2
	global_load_dword v132, v132, s[16:17]
	s_nop 0
	global_load_dword v133, v133, s[16:17] offset:1024
	s_nop 0
	global_load_dword v134, v134, s[16:17] offset:2048
	s_nop 0
	global_load_dword v135, v135, s[16:17]
	s_nop 0
	global_load_dword v131, v131, s[16:17] offset:1024
	s_nop 0
	global_load_dword v136, v74, s[16:17] offset:2048
	v_fma_f16 v74, v128, v127, -v130
	v_mul_f16_e32 v103, 0xb3a8, v103
	v_mul_f16_e32 v92, 0x3770, v92
	;; [unrolled: 1-line block ×9, first 2 shown]
	v_add_u32_e32 v105, 52, v5
	s_waitcnt vmcnt(7)
	v_lshrrev_b32_e32 v127, 16, v125
	s_waitcnt vmcnt(6)
	v_mul_f16_sdwa v128, v127, v126 dst_sel:DWORD dst_unused:UNUSED_PAD src0_sel:DWORD src1_sel:WORD_1
	v_fma_f16 v128, v125, v126, -v128
	v_mul_f16_sdwa v125, v125, v126 dst_sel:DWORD dst_unused:UNUSED_PAD src0_sel:DWORD src1_sel:WORD_1
	v_fma_f16 v125, v127, v126, v125
	v_mul_f16_sdwa v126, v125, v124 dst_sel:DWORD dst_unused:UNUSED_PAD src0_sel:DWORD src1_sel:WORD_1
	v_mul_f16_sdwa v127, v128, v124 dst_sel:DWORD dst_unused:UNUSED_PAD src0_sel:DWORD src1_sel:WORD_1
	v_fma_f16 v126, v124, v128, -v126
	v_fma_f16 v124, v124, v125, v127
	v_fma_f16 v125, v43, s21, v103
	v_add_f16_sdwa v125, v125, v2 dst_sel:DWORD dst_unused:UNUSED_PAD src0_sel:DWORD src1_sel:WORD_1
	v_fma_f16 v127, v40, s2, v92
	v_add_f16_e32 v125, v127, v125
	v_fma_f16 v127, v27, s20, v91
	v_add_f16_e32 v125, v127, v125
	;; [unrolled: 2-line block ×3, first 2 shown]
	v_mul_f16_e32 v127, 0xbb7b, v89
	v_fma_f16 v89, v25, s13, v127
	v_add_f16_e32 v89, v89, v125
	v_mul_f16_e32 v125, 0x3bf1, v88
	v_fma_f16 v88, v24, s12, v125
	v_add_f16_e32 v89, v88, v89
	v_mul_f16_e32 v128, 0x3770, v106
	v_fma_f16 v88, v44, s21, -v129
	v_add_f16_e32 v88, v88, v2
	v_fma_f16 v104, v46, s2, -v128
	v_add_f16_e32 v88, v104, v88
	;; [unrolled: 2-line block ×6, first 2 shown]
	v_mul_f16_e32 v88, v104, v124
	v_mul_lo_u32 v137, v1, v105
	v_add_u32_e32 v105, 39, v5
	v_fma_f16 v88, v89, v126, -v88
	v_mul_f16_e32 v89, v89, v124
	v_mul_lo_u32 v105, v1, v105
	v_add_u32_e32 v124, 26, v5
	v_mul_lo_u32 v124, v1, v124
	v_fma_f16 v89, v104, v126, v89
	v_lshlrev_b32_sdwa v104, v34, v137 dst_sel:DWORD dst_unused:UNUSED_PAD src0_sel:DWORD src1_sel:BYTE_0
	v_lshlrev_b32_sdwa v106, v34, v137 dst_sel:DWORD dst_unused:UNUSED_PAD src0_sel:DWORD src1_sel:BYTE_1
	v_lshlrev_b32_sdwa v126, v34, v105 dst_sel:DWORD dst_unused:UNUSED_PAD src0_sel:DWORD src1_sel:BYTE_2
	v_lshlrev_b32_sdwa v138, v34, v105 dst_sel:DWORD dst_unused:UNUSED_PAD src0_sel:DWORD src1_sel:BYTE_0
	v_lshlrev_b32_sdwa v105, v34, v105 dst_sel:DWORD dst_unused:UNUSED_PAD src0_sel:DWORD src1_sel:BYTE_1
	v_lshlrev_b32_sdwa v137, v34, v137 dst_sel:DWORD dst_unused:UNUSED_PAD src0_sel:DWORD src1_sel:BYTE_2
	v_lshlrev_b32_sdwa v139, v34, v124 dst_sel:DWORD dst_unused:UNUSED_PAD src0_sel:DWORD src1_sel:BYTE_2
	v_lshlrev_b32_sdwa v140, v34, v124 dst_sel:DWORD dst_unused:UNUSED_PAD src0_sel:DWORD src1_sel:BYTE_0
	global_load_dword v141, v104, s[16:17]
	global_load_dword v142, v106, s[16:17] offset:1024
	s_nop 0
	global_load_dword v106, v126, s[16:17] offset:2048
	s_nop 0
	global_load_dword v126, v138, s[16:17]
	s_nop 0
	global_load_dword v138, v105, s[16:17] offset:1024
	global_load_dword v104, v139, s[16:17] offset:2048
	s_nop 0
	global_load_dword v105, v140, s[16:17]
	v_fma_f16 v103, v43, s21, -v103
	global_load_dword v137, v137, s[16:17] offset:2048
	v_fma_f16 v92, v40, s2, -v92
	v_add_f16_sdwa v103, v103, v2 dst_sel:DWORD dst_unused:UNUSED_PAD src0_sel:DWORD src1_sel:WORD_1
	v_add_f16_e32 v92, v92, v103
	v_fma_f16 v91, v27, s20, -v91
	v_add_f16_e32 v91, v91, v92
	v_fma_f16 v90, v26, s3, -v90
	;; [unrolled: 2-line block ×4, first 2 shown]
	v_fma_f16 v92, v44, s21, v129
	v_add_f16_e32 v91, v91, v90
	v_fma_f16 v90, v46, s2, v128
	v_add_f16_e32 v92, v92, v2
	s_waitcnt vmcnt(13)
	v_lshrrev_b32_e32 v139, 16, v132
	v_add_f16_e32 v90, v90, v92
	v_fma_f16 v92, v48, s20, v130
	s_waitcnt vmcnt(12)
	v_mul_f16_sdwa v140, v139, v133 dst_sel:DWORD dst_unused:UNUSED_PAD src0_sel:DWORD src1_sel:WORD_1
	v_add_f16_e32 v90, v92, v90
	v_fma_f16 v92, v50, s3, v107
	v_fma_f16 v140, v132, v133, -v140
	v_mul_f16_sdwa v132, v132, v133 dst_sel:DWORD dst_unused:UNUSED_PAD src0_sel:DWORD src1_sel:WORD_1
	v_add_f16_e32 v90, v92, v90
	v_fma_f16 v92, v52, s13, v108
	v_fma_f16 v132, v139, v133, v132
	s_waitcnt vmcnt(8)
	v_mul_f16_sdwa v139, v140, v136 dst_sel:DWORD dst_unused:UNUSED_PAD src0_sel:DWORD src1_sel:WORD_1
	v_add_f16_e32 v90, v92, v90
	v_fma_f16 v92, v56, s12, v111
	v_mul_f16_sdwa v133, v132, v136 dst_sel:DWORD dst_unused:UNUSED_PAD src0_sel:DWORD src1_sel:WORD_1
	v_fma_f16 v132, v136, v132, v139
	v_add_f16_e32 v92, v92, v90
	v_fma_f16 v133, v136, v140, -v133
	v_mul_f16_e32 v90, v92, v132
	v_fma_f16 v90, v91, v133, -v90
	v_mul_f16_e32 v91, v91, v132
	v_fma_f16 v91, v92, v133, v91
	v_lshrrev_b32_e32 v92, 16, v135
	v_mul_f16_sdwa v107, v135, v131 dst_sel:DWORD dst_unused:UNUSED_PAD src0_sel:DWORD src1_sel:WORD_1
	v_mul_f16_sdwa v103, v92, v131 dst_sel:DWORD dst_unused:UNUSED_PAD src0_sel:DWORD src1_sel:WORD_1
	v_fma_f16 v92, v92, v131, v107
	v_fma_f16 v103, v135, v131, -v103
	v_mul_f16_sdwa v107, v92, v134 dst_sel:DWORD dst_unused:UNUSED_PAD src0_sel:DWORD src1_sel:WORD_1
	v_fma_f16 v107, v134, v103, -v107
	v_mul_f16_sdwa v103, v103, v134 dst_sel:DWORD dst_unused:UNUSED_PAD src0_sel:DWORD src1_sel:WORD_1
	v_fma_f16 v108, v43, s20, -v112
	v_fma_f16 v103, v134, v92, v103
	v_fma_f16 v92, v40, s12, -v115
	v_add_f16_sdwa v108, v108, v2 dst_sel:DWORD dst_unused:UNUSED_PAD src0_sel:DWORD src1_sel:WORD_1
	v_add_f16_e32 v92, v92, v108
	v_fma_f16 v108, v27, s3, -v113
	v_add_f16_e32 v92, v108, v92
	v_fma_f16 v108, v26, s21, -v114
	;; [unrolled: 2-line block ×4, first 2 shown]
	v_fma_f16 v111, v44, s20, v118
	v_add_f16_e32 v108, v108, v92
	v_fma_f16 v92, v46, s12, v121
	v_add_f16_e32 v111, v111, v2
	v_add_f16_e32 v92, v92, v111
	v_fma_f16 v111, v48, s3, v119
	v_add_f16_e32 v92, v111, v92
	v_fma_f16 v111, v50, s21, v120
	;; [unrolled: 2-line block ×4, first 2 shown]
	v_add_f16_e32 v111, v111, v92
	v_mul_f16_e32 v92, v111, v103
	v_mul_f16_e32 v103, v108, v103
	v_fma_f16 v92, v108, v107, -v92
	v_fma_f16 v103, v111, v107, v103
	s_waitcnt vmcnt(7)
	v_lshrrev_b32_e32 v107, 16, v141
	s_waitcnt vmcnt(6)
	v_mul_f16_sdwa v111, v141, v142 dst_sel:DWORD dst_unused:UNUSED_PAD src0_sel:DWORD src1_sel:WORD_1
	v_mul_f16_sdwa v108, v107, v142 dst_sel:DWORD dst_unused:UNUSED_PAD src0_sel:DWORD src1_sel:WORD_1
	v_fma_f16 v107, v107, v142, v111
	v_fma_f16 v108, v141, v142, -v108
	v_fma_f16 v109, v43, s13, -v109
	s_waitcnt vmcnt(0)
	v_mul_f16_sdwa v111, v107, v137 dst_sel:DWORD dst_unused:UNUSED_PAD src0_sel:DWORD src1_sel:WORD_1
	v_fma_f16 v111, v137, v108, -v111
	v_mul_f16_sdwa v108, v108, v137 dst_sel:DWORD dst_unused:UNUSED_PAD src0_sel:DWORD src1_sel:WORD_1
	v_fma_f16 v107, v137, v107, v108
	v_fma_f16 v108, v40, s20, -v110
	v_add_f16_sdwa v109, v109, v2 dst_sel:DWORD dst_unused:UNUSED_PAD src0_sel:DWORD src1_sel:WORD_1
	v_add_f16_e32 v108, v108, v109
	v_fma_f16 v93, v27, s2, -v93
	v_add_f16_e32 v93, v93, v108
	v_fma_f16 v94, v26, s12, -v94
	;; [unrolled: 2-line block ×4, first 2 shown]
	v_fma_f16 v95, v44, s13, v97
	v_add_f16_e32 v93, v94, v93
	v_fma_f16 v94, v46, s20, v99
	v_add_f16_e32 v95, v95, v2
	v_add_f16_e32 v94, v94, v95
	v_fma_f16 v95, v48, s2, v98
	v_lshlrev_b32_sdwa v110, v34, v124 dst_sel:DWORD dst_unused:UNUSED_PAD src0_sel:DWORD src1_sel:BYTE_1
	v_add_f16_e32 v94, v95, v94
	v_fma_f16 v95, v50, s12, v100
	global_load_dword v110, v110, s[16:17] offset:1024
	v_add_f16_e32 v94, v95, v94
	v_fma_f16 v95, v52, s21, v101
	v_add_f16_e32 v94, v95, v94
	v_fma_f16 v95, v56, s3, v102
	v_add_u32_e32 v97, 13, v5
	v_fma_f16 v78, v43, s12, -v78
	v_add_f16_e32 v94, v95, v94
	v_mul_lo_u32 v97, v1, v97
	v_fma_f16 v81, v40, s21, -v81
	v_add_f16_sdwa v78, v78, v2 dst_sel:DWORD dst_unused:UNUSED_PAD src0_sel:DWORD src1_sel:WORD_1
	v_mul_f16_e32 v95, v94, v107
	v_add_f16_e32 v78, v81, v78
	v_fma_f16 v79, v27, s13, -v79
	v_fma_f16 v95, v93, v111, -v95
	v_mul_f16_e32 v93, v93, v107
	v_add_f16_e32 v78, v79, v78
	v_fma_f16 v79, v26, s2, -v80
	v_mul_lo_u32 v1, v1, v5
	v_fma_f16 v93, v94, v111, v93
	v_lshrrev_b32_e32 v94, 16, v126
	v_mul_f16_sdwa v98, v126, v138 dst_sel:DWORD dst_unused:UNUSED_PAD src0_sel:DWORD src1_sel:WORD_1
	v_add_f16_e32 v78, v79, v78
	v_fma_f16 v79, v25, s3, -v82
	v_mul_f16_sdwa v96, v94, v138 dst_sel:DWORD dst_unused:UNUSED_PAD src0_sel:DWORD src1_sel:WORD_1
	v_fma_f16 v94, v94, v138, v98
	v_lshlrev_b32_sdwa v98, v34, v97 dst_sel:DWORD dst_unused:UNUSED_PAD src0_sel:DWORD src1_sel:BYTE_0
	v_add_f16_e32 v78, v79, v78
	v_fma_f16 v79, v24, s20, -v83
	v_fma_f16 v80, v44, s12, v84
	v_lshlrev_b32_sdwa v99, v34, v97 dst_sel:DWORD dst_unused:UNUSED_PAD src0_sel:DWORD src1_sel:BYTE_1
	global_load_dword v100, v98, s[16:17]
	global_load_dword v101, v99, s[16:17] offset:1024
	v_add_f16_e32 v78, v79, v78
	v_fma_f16 v79, v46, s21, v87
	v_add_f16_e32 v80, v80, v2
	v_add_f16_e32 v79, v79, v80
	v_fma_f16 v80, v48, s13, v86
	v_lshlrev_b32_sdwa v82, v34, v1 dst_sel:DWORD dst_unused:UNUSED_PAD src0_sel:DWORD src1_sel:BYTE_2
	v_add_f16_e32 v79, v80, v79
	v_fma_f16 v80, v50, s2, v85
	v_lshlrev_b32_sdwa v81, v34, v97 dst_sel:DWORD dst_unused:UNUSED_PAD src0_sel:DWORD src1_sel:BYTE_2
	v_lshlrev_b32_sdwa v83, v34, v1 dst_sel:DWORD dst_unused:UNUSED_PAD src0_sel:DWORD src1_sel:BYTE_0
	v_lshlrev_b32_sdwa v1, v34, v1 dst_sel:DWORD dst_unused:UNUSED_PAD src0_sel:DWORD src1_sel:BYTE_1
	global_load_dword v34, v82, s[16:17] offset:2048
	global_load_dword v84, v83, s[16:17]
	global_load_dword v85, v1, s[16:17] offset:1024
	global_load_dword v86, v81, s[16:17] offset:2048
	v_fma_f16 v58, v43, s3, -v58
	v_fma_f16 v61, v40, s13, -v61
	v_add_f16_sdwa v58, v58, v2 dst_sel:DWORD dst_unused:UNUSED_PAD src0_sel:DWORD src1_sel:WORD_1
	v_add_f16_e32 v58, v61, v58
	v_fma_f16 v59, v27, s21, -v59
	v_fma_f16 v96, v126, v138, -v96
	v_mul_f16_sdwa v98, v94, v106 dst_sel:DWORD dst_unused:UNUSED_PAD src0_sel:DWORD src1_sel:WORD_1
	v_add_f16_e32 v58, v59, v58
	v_fma_f16 v59, v26, s20, -v60
	v_fma_f16 v98, v106, v96, -v98
	v_mul_f16_sdwa v96, v96, v106 dst_sel:DWORD dst_unused:UNUSED_PAD src0_sel:DWORD src1_sel:WORD_1
	v_add_f16_e32 v1, v80, v79
	v_fma_f16 v76, v52, s3, v76
	v_add_f16_e32 v58, v59, v58
	v_fma_f16 v59, v25, s12, -v64
	v_fma_f16 v94, v106, v94, v96
	v_add_f16_e32 v1, v76, v1
	v_fma_f16 v76, v56, s20, v77
	v_add_f16_e32 v58, v59, v58
	v_fma_f16 v59, v24, s2, -v67
	v_fma_f16 v60, v44, s3, v68
	v_add_f16_e32 v1, v76, v1
	v_mul_f16_e32 v77, v78, v94
	v_add_f16_e32 v58, v59, v58
	v_fma_f16 v59, v46, s13, v71
	v_add_f16_e32 v60, v60, v2
	v_mul_f16_e32 v76, v1, v94
	v_fma_f16 v77, v1, v98, v77
	v_lshrrev_b32_e32 v1, 16, v105
	v_add_f16_e32 v59, v59, v60
	v_fma_f16 v60, v48, s21, v69
	v_fma_f16 v76, v78, v98, -v76
	v_add_f16_e32 v59, v60, v59
	v_fma_f16 v60, v50, s20, v70
	v_add_f16_e32 v59, v60, v59
	v_fma_f16 v60, v52, s12, v72
	s_waitcnt vmcnt(6)
	v_mul_f16_sdwa v79, v105, v110 dst_sel:DWORD dst_unused:UNUSED_PAD src0_sel:DWORD src1_sel:WORD_1
	v_mul_f16_sdwa v78, v1, v110 dst_sel:DWORD dst_unused:UNUSED_PAD src0_sel:DWORD src1_sel:WORD_1
	v_fma_f16 v1, v1, v110, v79
	v_fma_f16 v78, v105, v110, -v78
	v_mul_f16_sdwa v79, v1, v104 dst_sel:DWORD dst_unused:UNUSED_PAD src0_sel:DWORD src1_sel:WORD_1
	v_fma_f16 v79, v104, v78, -v79
	v_mul_f16_sdwa v78, v78, v104 dst_sel:DWORD dst_unused:UNUSED_PAD src0_sel:DWORD src1_sel:WORD_1
	v_add_f16_e32 v59, v60, v59
	v_fma_f16 v60, v56, s2, v73
	v_fma_f16 v25, v25, s20, -v29
	v_fma_f16 v29, v43, s2, -v42
	v_fma_f16 v1, v104, v1, v78
	v_add_f16_e32 v59, v60, v59
	v_fma_f16 v24, v24, s21, -v28
	v_fma_f16 v26, v26, s13, -v30
	v_fma_f16 v28, v40, s3, -v32
	v_add_f16_sdwa v29, v29, v2 dst_sel:DWORD dst_unused:UNUSED_PAD src0_sel:DWORD src1_sel:WORD_1
	v_fma_f16 v30, v44, s2, v45
	v_mul_f16_e32 v60, v59, v1
	v_mul_f16_e32 v1, v58, v1
	v_fma_f16 v27, v27, s12, -v31
	v_add_f16_e32 v28, v28, v29
	v_fma_f16 v29, v46, s3, v47
	v_add_f16_e32 v30, v30, v2
	v_fma_f16 v60, v58, v79, -v60
	v_fma_f16 v58, v59, v79, v1
	v_add_f16_e32 v27, v27, v28
	v_fma_f16 v28, v48, s12, v49
	v_add_f16_e32 v29, v29, v30
	v_add_f16_e32 v26, v26, v27
	s_waitcnt vmcnt(5)
	v_lshrrev_b32_e32 v1, 16, v100
	s_waitcnt vmcnt(4)
	v_mul_f16_sdwa v59, v1, v101 dst_sel:DWORD dst_unused:UNUSED_PAD src0_sel:DWORD src1_sel:WORD_1
	v_fma_f16 v27, v50, s13, v51
	v_add_f16_e32 v28, v28, v29
	v_fma_f16 v59, v100, v101, -v59
	v_mul_f16_sdwa v61, v100, v101 dst_sel:DWORD dst_unused:UNUSED_PAD src0_sel:DWORD src1_sel:WORD_1
	v_add_f16_e32 v25, v25, v26
	v_fma_f16 v26, v52, s20, v53
	v_add_f16_e32 v27, v27, v28
	v_fma_f16 v1, v1, v101, v61
	;; [unrolled: 2-line block ×3, first 2 shown]
	v_add_f16_e32 v26, v26, v27
	s_waitcnt vmcnt(0)
	v_mul_f16_sdwa v27, v59, v86 dst_sel:DWORD dst_unused:UNUSED_PAD src0_sel:DWORD src1_sel:WORD_1
	v_add_f16_e32 v25, v25, v26
	v_mul_f16_sdwa v26, v1, v86 dst_sel:DWORD dst_unused:UNUSED_PAD src0_sel:DWORD src1_sel:WORD_1
	v_fma_f16 v1, v86, v1, v27
	v_fma_f16 v26, v86, v59, -v26
	v_mul_f16_e32 v27, v25, v1
	v_mul_f16_e32 v1, v24, v1
	v_fma_f16 v27, v24, v26, -v27
	v_fma_f16 v24, v25, v26, v1
	v_add_f16_sdwa v1, v39, v2 dst_sel:DWORD dst_unused:UNUSED_PAD src0_sel:DWORD src1_sel:WORD_1
	v_add_f16_e32 v2, v38, v2
	v_add_f16_e32 v2, v2, v15
	;; [unrolled: 1-line block ×13, first 2 shown]
	v_lshrrev_b32_e32 v16, 16, v84
	v_add_f16_e32 v2, v2, v8
	v_add_f16_e32 v1, v1, v18
	v_mul_f16_sdwa v17, v16, v85 dst_sel:DWORD dst_unused:UNUSED_PAD src0_sel:DWORD src1_sel:WORD_1
	v_add_f16_e32 v2, v2, v10
	v_add_f16_e32 v1, v1, v20
	v_fma_f16 v17, v84, v85, -v17
	v_mul_f16_sdwa v18, v84, v85 dst_sel:DWORD dst_unused:UNUSED_PAD src0_sel:DWORD src1_sel:WORD_1
	v_add_f16_e32 v2, v2, v11
	v_add_f16_e32 v1, v1, v21
	v_fma_f16 v16, v16, v85, v18
	v_add_f16_e32 v2, v2, v13
	v_mul_f16_sdwa v6, v17, v34 dst_sel:DWORD dst_unused:UNUSED_PAD src0_sel:DWORD src1_sel:WORD_1
	v_add_f16_e32 v1, v1, v37
	v_mul_f16_sdwa v18, v16, v34 dst_sel:DWORD dst_unused:UNUSED_PAD src0_sel:DWORD src1_sel:WORD_1
	v_add_f16_e32 v2, v2, v36
	v_fma_f16 v6, v34, v16, v6
	v_add_f16_e32 v1, v1, v41
	v_fma_f16 v18, v34, v17, -v18
	v_mul_f16_e32 v7, v2, v6
	s_mul_hi_u32 s2, s0, s24
	v_fma_f16 v10, v1, v18, -v7
	v_mul_f16_e32 v1, v1, v6
	s_add_i32 s1, s2, s1
	v_fma_f16 v11, v2, v18, v1
	v_mad_u64_u32 v[1:2], s[2:3], s10, v4, 0
	s_movk_i32 s2, 0x1a5
	v_mul_u32_u24_sdwa v0, v0, s2 dst_sel:DWORD dst_unused:UNUSED_PAD src0_sel:WORD_0 src1_sel:DWORD
	s_movk_i32 s2, 0xa9
	v_mul_lo_u16_sdwa v0, v0, s2 dst_sel:DWORD dst_unused:UNUSED_PAD src0_sel:WORD_1 src1_sel:DWORD
	v_add_u32_e32 v12, v5, v0
	v_mad_u64_u32 v[5:6], s[2:3], s8, v12, 0
	v_mov_b32_e32 v0, v2
	v_mad_u64_u32 v[7:8], s[2:3], s11, v4, v[0:1]
	s_mul_i32 s0, s0, s24
	v_mov_b32_e32 v0, v6
	v_mad_u64_u32 v[8:9], s[2:3], s9, v12, v[0:1]
	s_lshl_b64 s[0:1], s[0:1], 2
	s_add_u32 s2, s14, s0
	v_mov_b32_e32 v2, v7
	s_addc_u32 s3, s15, s1
	s_lshl_b64 s[0:1], s[4:5], 2
	s_add_u32 s0, s2, s0
	v_lshlrev_b64 v[0:1], 2, v[1:2]
	s_addc_u32 s1, s3, s1
	v_mov_b32_e32 v6, v8
	v_mov_b32_e32 v2, s1
	v_add_co_u32_e32 v7, vcc, s0, v0
	v_addc_co_u32_e32 v8, vcc, v2, v1, vcc
	v_lshlrev_b64 v[0:1], 2, v[5:6]
	v_add_u32_e32 v6, 13, v12
	v_mad_u64_u32 v[4:5], s[0:1], s8, v6, 0
	v_add_co_u32_e32 v0, vcc, v7, v0
	v_mov_b32_e32 v2, v5
	v_mad_u64_u32 v[5:6], s[0:1], s9, v6, v[2:3]
	v_addc_co_u32_e32 v1, vcc, v8, v1, vcc
	v_pack_b32_f16 v2, v11, v10
	v_add_u32_e32 v6, 26, v12
	global_store_dword v[0:1], v2, off
	v_lshlrev_b64 v[0:1], 2, v[4:5]
	v_mad_u64_u32 v[4:5], s[0:1], s8, v6, 0
	v_add_co_u32_e32 v0, vcc, v7, v0
	v_mov_b32_e32 v2, v5
	v_mad_u64_u32 v[5:6], s[0:1], s9, v6, v[2:3]
	v_addc_co_u32_e32 v1, vcc, v8, v1, vcc
	v_pack_b32_f16 v2, v24, v27
	v_add_u32_e32 v6, 39, v12
	global_store_dword v[0:1], v2, off
	v_lshlrev_b64 v[0:1], 2, v[4:5]
	;; [unrolled: 9-line block ×11, first 2 shown]
	v_mad_u64_u32 v[4:5], s[0:1], s8, v6, 0
	v_add_co_u32_e32 v0, vcc, v7, v0
	v_mov_b32_e32 v2, v5
	v_mad_u64_u32 v[5:6], s[0:1], s9, v6, v[2:3]
	v_addc_co_u32_e32 v1, vcc, v8, v1, vcc
	v_pack_b32_f16 v2, v55, v54
	global_store_dword v[0:1], v2, off
	v_lshlrev_b64 v[0:1], 2, v[4:5]
	v_pack_b32_f16 v2, v33, v3
	v_add_co_u32_e32 v0, vcc, v7, v0
	v_addc_co_u32_e32 v1, vcc, v8, v1, vcc
	global_store_dword v[0:1], v2, off
.LBB0_16:
	s_endpgm
	.section	.rodata,"a",@progbits
	.p2align	6, 0x0
	.amdhsa_kernel fft_rtc_back_len169_factors_13_13_wgs_156_tpt_13_half_op_CI_CI_sbcc_twdbase8_3step_dirReg
		.amdhsa_group_segment_fixed_size 0
		.amdhsa_private_segment_fixed_size 0
		.amdhsa_kernarg_size 112
		.amdhsa_user_sgpr_count 6
		.amdhsa_user_sgpr_private_segment_buffer 1
		.amdhsa_user_sgpr_dispatch_ptr 0
		.amdhsa_user_sgpr_queue_ptr 0
		.amdhsa_user_sgpr_kernarg_segment_ptr 1
		.amdhsa_user_sgpr_dispatch_id 0
		.amdhsa_user_sgpr_flat_scratch_init 0
		.amdhsa_user_sgpr_private_segment_size 0
		.amdhsa_uses_dynamic_stack 0
		.amdhsa_system_sgpr_private_segment_wavefront_offset 0
		.amdhsa_system_sgpr_workgroup_id_x 1
		.amdhsa_system_sgpr_workgroup_id_y 0
		.amdhsa_system_sgpr_workgroup_id_z 0
		.amdhsa_system_sgpr_workgroup_info 0
		.amdhsa_system_vgpr_workitem_id 0
		.amdhsa_next_free_vgpr 143
		.amdhsa_next_free_sgpr 57
		.amdhsa_reserve_vcc 1
		.amdhsa_reserve_flat_scratch 0
		.amdhsa_float_round_mode_32 0
		.amdhsa_float_round_mode_16_64 0
		.amdhsa_float_denorm_mode_32 3
		.amdhsa_float_denorm_mode_16_64 3
		.amdhsa_dx10_clamp 1
		.amdhsa_ieee_mode 1
		.amdhsa_fp16_overflow 0
		.amdhsa_exception_fp_ieee_invalid_op 0
		.amdhsa_exception_fp_denorm_src 0
		.amdhsa_exception_fp_ieee_div_zero 0
		.amdhsa_exception_fp_ieee_overflow 0
		.amdhsa_exception_fp_ieee_underflow 0
		.amdhsa_exception_fp_ieee_inexact 0
		.amdhsa_exception_int_div_zero 0
	.end_amdhsa_kernel
	.text
.Lfunc_end0:
	.size	fft_rtc_back_len169_factors_13_13_wgs_156_tpt_13_half_op_CI_CI_sbcc_twdbase8_3step_dirReg, .Lfunc_end0-fft_rtc_back_len169_factors_13_13_wgs_156_tpt_13_half_op_CI_CI_sbcc_twdbase8_3step_dirReg
                                        ; -- End function
	.section	.AMDGPU.csdata,"",@progbits
; Kernel info:
; codeLenInByte = 11460
; NumSgprs: 61
; NumVgprs: 143
; ScratchSize: 0
; MemoryBound: 0
; FloatMode: 240
; IeeeMode: 1
; LDSByteSize: 0 bytes/workgroup (compile time only)
; SGPRBlocks: 7
; VGPRBlocks: 35
; NumSGPRsForWavesPerEU: 61
; NumVGPRsForWavesPerEU: 143
; Occupancy: 1
; WaveLimiterHint : 1
; COMPUTE_PGM_RSRC2:SCRATCH_EN: 0
; COMPUTE_PGM_RSRC2:USER_SGPR: 6
; COMPUTE_PGM_RSRC2:TRAP_HANDLER: 0
; COMPUTE_PGM_RSRC2:TGID_X_EN: 1
; COMPUTE_PGM_RSRC2:TGID_Y_EN: 0
; COMPUTE_PGM_RSRC2:TGID_Z_EN: 0
; COMPUTE_PGM_RSRC2:TIDIG_COMP_CNT: 0
	.type	__hip_cuid_846d186ca7ff3ba9,@object ; @__hip_cuid_846d186ca7ff3ba9
	.section	.bss,"aw",@nobits
	.globl	__hip_cuid_846d186ca7ff3ba9
__hip_cuid_846d186ca7ff3ba9:
	.byte	0                               ; 0x0
	.size	__hip_cuid_846d186ca7ff3ba9, 1

	.ident	"AMD clang version 19.0.0git (https://github.com/RadeonOpenCompute/llvm-project roc-6.4.0 25133 c7fe45cf4b819c5991fe208aaa96edf142730f1d)"
	.section	".note.GNU-stack","",@progbits
	.addrsig
	.addrsig_sym __hip_cuid_846d186ca7ff3ba9
	.amdgpu_metadata
---
amdhsa.kernels:
  - .args:
      - .actual_access:  read_only
        .address_space:  global
        .offset:         0
        .size:           8
        .value_kind:     global_buffer
      - .address_space:  global
        .offset:         8
        .size:           8
        .value_kind:     global_buffer
      - .offset:         16
        .size:           8
        .value_kind:     by_value
      - .actual_access:  read_only
        .address_space:  global
        .offset:         24
        .size:           8
        .value_kind:     global_buffer
      - .actual_access:  read_only
        .address_space:  global
        .offset:         32
        .size:           8
        .value_kind:     global_buffer
      - .actual_access:  read_only
        .address_space:  global
        .offset:         40
        .size:           8
        .value_kind:     global_buffer
      - .offset:         48
        .size:           8
        .value_kind:     by_value
      - .actual_access:  read_only
        .address_space:  global
        .offset:         56
        .size:           8
        .value_kind:     global_buffer
      - .actual_access:  read_only
        .address_space:  global
        .offset:         64
        .size:           8
        .value_kind:     global_buffer
      - .offset:         72
        .size:           4
        .value_kind:     by_value
      - .actual_access:  read_only
        .address_space:  global
        .offset:         80
        .size:           8
        .value_kind:     global_buffer
      - .actual_access:  read_only
        .address_space:  global
        .offset:         88
        .size:           8
        .value_kind:     global_buffer
      - .actual_access:  read_only
        .address_space:  global
        .offset:         96
        .size:           8
        .value_kind:     global_buffer
      - .actual_access:  write_only
        .address_space:  global
        .offset:         104
        .size:           8
        .value_kind:     global_buffer
    .group_segment_fixed_size: 0
    .kernarg_segment_align: 8
    .kernarg_segment_size: 112
    .language:       OpenCL C
    .language_version:
      - 2
      - 0
    .max_flat_workgroup_size: 156
    .name:           fft_rtc_back_len169_factors_13_13_wgs_156_tpt_13_half_op_CI_CI_sbcc_twdbase8_3step_dirReg
    .private_segment_fixed_size: 0
    .sgpr_count:     61
    .sgpr_spill_count: 0
    .symbol:         fft_rtc_back_len169_factors_13_13_wgs_156_tpt_13_half_op_CI_CI_sbcc_twdbase8_3step_dirReg.kd
    .uniform_work_group_size: 1
    .uses_dynamic_stack: false
    .vgpr_count:     143
    .vgpr_spill_count: 0
    .wavefront_size: 64
amdhsa.target:   amdgcn-amd-amdhsa--gfx906
amdhsa.version:
  - 1
  - 2
...

	.end_amdgpu_metadata
